;; amdgpu-corpus repo=ROCm/rocFFT kind=compiled arch=gfx1201 opt=O3
	.text
	.amdgcn_target "amdgcn-amd-amdhsa--gfx1201"
	.amdhsa_code_object_version 6
	.protected	fft_rtc_back_len4000_factors_10_10_10_4_wgs_200_tpt_200_halfLds_dp_ip_CI_unitstride_sbrr_dirReg ; -- Begin function fft_rtc_back_len4000_factors_10_10_10_4_wgs_200_tpt_200_halfLds_dp_ip_CI_unitstride_sbrr_dirReg
	.globl	fft_rtc_back_len4000_factors_10_10_10_4_wgs_200_tpt_200_halfLds_dp_ip_CI_unitstride_sbrr_dirReg
	.p2align	8
	.type	fft_rtc_back_len4000_factors_10_10_10_4_wgs_200_tpt_200_halfLds_dp_ip_CI_unitstride_sbrr_dirReg,@function
fft_rtc_back_len4000_factors_10_10_10_4_wgs_200_tpt_200_halfLds_dp_ip_CI_unitstride_sbrr_dirReg: ; @fft_rtc_back_len4000_factors_10_10_10_4_wgs_200_tpt_200_halfLds_dp_ip_CI_unitstride_sbrr_dirReg
; %bb.0:
	s_clause 0x2
	s_load_b128 s[4:7], s[0:1], 0x0
	s_load_b64 s[8:9], s[0:1], 0x50
	s_load_b64 s[10:11], s[0:1], 0x18
	v_mul_u32_u24_e32 v1, 0x148, v0
	v_mov_b32_e32 v3, 0
	s_delay_alu instid0(VALU_DEP_2) | instskip(NEXT) | instid1(VALU_DEP_1)
	v_lshrrev_b32_e32 v1, 16, v1
	v_add_nc_u32_e32 v5, ttmp9, v1
	v_mov_b32_e32 v1, 0
	v_mov_b32_e32 v2, 0
	;; [unrolled: 1-line block ×3, first 2 shown]
	s_wait_kmcnt 0x0
	v_cmp_lt_u64_e64 s2, s[6:7], 2
	s_delay_alu instid0(VALU_DEP_1)
	s_and_b32 vcc_lo, exec_lo, s2
	s_cbranch_vccnz .LBB0_8
; %bb.1:
	s_load_b64 s[2:3], s[0:1], 0x10
	v_mov_b32_e32 v1, 0
	v_mov_b32_e32 v2, 0
	s_add_nc_u64 s[12:13], s[10:11], 8
	s_mov_b64 s[14:15], 1
	s_wait_kmcnt 0x0
	s_add_nc_u64 s[16:17], s[2:3], 8
	s_mov_b32 s3, 0
.LBB0_2:                                ; =>This Inner Loop Header: Depth=1
	s_load_b64 s[18:19], s[16:17], 0x0
                                        ; implicit-def: $vgpr7_vgpr8
	s_mov_b32 s2, exec_lo
	s_wait_kmcnt 0x0
	v_or_b32_e32 v4, s19, v6
	s_delay_alu instid0(VALU_DEP_1)
	v_cmpx_ne_u64_e32 0, v[3:4]
	s_wait_alu 0xfffe
	s_xor_b32 s20, exec_lo, s2
	s_cbranch_execz .LBB0_4
; %bb.3:                                ;   in Loop: Header=BB0_2 Depth=1
	s_cvt_f32_u32 s2, s18
	s_cvt_f32_u32 s21, s19
	s_sub_nc_u64 s[24:25], 0, s[18:19]
	s_wait_alu 0xfffe
	s_delay_alu instid0(SALU_CYCLE_1) | instskip(SKIP_1) | instid1(SALU_CYCLE_2)
	s_fmamk_f32 s2, s21, 0x4f800000, s2
	s_wait_alu 0xfffe
	v_s_rcp_f32 s2, s2
	s_delay_alu instid0(TRANS32_DEP_1) | instskip(SKIP_1) | instid1(SALU_CYCLE_2)
	s_mul_f32 s2, s2, 0x5f7ffffc
	s_wait_alu 0xfffe
	s_mul_f32 s21, s2, 0x2f800000
	s_wait_alu 0xfffe
	s_delay_alu instid0(SALU_CYCLE_2) | instskip(SKIP_1) | instid1(SALU_CYCLE_2)
	s_trunc_f32 s21, s21
	s_wait_alu 0xfffe
	s_fmamk_f32 s2, s21, 0xcf800000, s2
	s_cvt_u32_f32 s23, s21
	s_wait_alu 0xfffe
	s_delay_alu instid0(SALU_CYCLE_1) | instskip(SKIP_1) | instid1(SALU_CYCLE_2)
	s_cvt_u32_f32 s22, s2
	s_wait_alu 0xfffe
	s_mul_u64 s[26:27], s[24:25], s[22:23]
	s_wait_alu 0xfffe
	s_mul_hi_u32 s29, s22, s27
	s_mul_i32 s28, s22, s27
	s_mul_hi_u32 s2, s22, s26
	s_mul_i32 s30, s23, s26
	s_wait_alu 0xfffe
	s_add_nc_u64 s[28:29], s[2:3], s[28:29]
	s_mul_hi_u32 s21, s23, s26
	s_mul_hi_u32 s31, s23, s27
	s_add_co_u32 s2, s28, s30
	s_wait_alu 0xfffe
	s_add_co_ci_u32 s2, s29, s21
	s_mul_i32 s26, s23, s27
	s_add_co_ci_u32 s27, s31, 0
	s_wait_alu 0xfffe
	s_add_nc_u64 s[26:27], s[2:3], s[26:27]
	s_wait_alu 0xfffe
	v_add_co_u32 v4, s2, s22, s26
	s_delay_alu instid0(VALU_DEP_1) | instskip(SKIP_1) | instid1(VALU_DEP_1)
	s_cmp_lg_u32 s2, 0
	s_add_co_ci_u32 s23, s23, s27
	v_readfirstlane_b32 s22, v4
	s_wait_alu 0xfffe
	s_delay_alu instid0(VALU_DEP_1)
	s_mul_u64 s[24:25], s[24:25], s[22:23]
	s_wait_alu 0xfffe
	s_mul_hi_u32 s27, s22, s25
	s_mul_i32 s26, s22, s25
	s_mul_hi_u32 s2, s22, s24
	s_mul_i32 s28, s23, s24
	s_wait_alu 0xfffe
	s_add_nc_u64 s[26:27], s[2:3], s[26:27]
	s_mul_hi_u32 s21, s23, s24
	s_mul_hi_u32 s22, s23, s25
	s_wait_alu 0xfffe
	s_add_co_u32 s2, s26, s28
	s_add_co_ci_u32 s2, s27, s21
	s_mul_i32 s24, s23, s25
	s_add_co_ci_u32 s25, s22, 0
	s_wait_alu 0xfffe
	s_add_nc_u64 s[24:25], s[2:3], s[24:25]
	s_wait_alu 0xfffe
	v_add_co_u32 v4, s2, v4, s24
	s_delay_alu instid0(VALU_DEP_1) | instskip(SKIP_1) | instid1(VALU_DEP_1)
	s_cmp_lg_u32 s2, 0
	s_add_co_ci_u32 s2, s23, s25
	v_mul_hi_u32 v13, v5, v4
	s_wait_alu 0xfffe
	v_mad_co_u64_u32 v[7:8], null, v5, s2, 0
	v_mad_co_u64_u32 v[9:10], null, v6, v4, 0
	;; [unrolled: 1-line block ×3, first 2 shown]
	s_delay_alu instid0(VALU_DEP_3) | instskip(SKIP_1) | instid1(VALU_DEP_4)
	v_add_co_u32 v4, vcc_lo, v13, v7
	s_wait_alu 0xfffd
	v_add_co_ci_u32_e32 v7, vcc_lo, 0, v8, vcc_lo
	s_delay_alu instid0(VALU_DEP_2) | instskip(SKIP_1) | instid1(VALU_DEP_2)
	v_add_co_u32 v4, vcc_lo, v4, v9
	s_wait_alu 0xfffd
	v_add_co_ci_u32_e32 v4, vcc_lo, v7, v10, vcc_lo
	s_wait_alu 0xfffd
	v_add_co_ci_u32_e32 v7, vcc_lo, 0, v12, vcc_lo
	s_delay_alu instid0(VALU_DEP_2) | instskip(SKIP_1) | instid1(VALU_DEP_2)
	v_add_co_u32 v4, vcc_lo, v4, v11
	s_wait_alu 0xfffd
	v_add_co_ci_u32_e32 v9, vcc_lo, 0, v7, vcc_lo
	s_delay_alu instid0(VALU_DEP_2) | instskip(SKIP_1) | instid1(VALU_DEP_3)
	v_mul_lo_u32 v10, s19, v4
	v_mad_co_u64_u32 v[7:8], null, s18, v4, 0
	v_mul_lo_u32 v11, s18, v9
	s_delay_alu instid0(VALU_DEP_2) | instskip(NEXT) | instid1(VALU_DEP_2)
	v_sub_co_u32 v7, vcc_lo, v5, v7
	v_add3_u32 v8, v8, v11, v10
	s_delay_alu instid0(VALU_DEP_1) | instskip(SKIP_1) | instid1(VALU_DEP_1)
	v_sub_nc_u32_e32 v10, v6, v8
	s_wait_alu 0xfffd
	v_subrev_co_ci_u32_e64 v10, s2, s19, v10, vcc_lo
	v_add_co_u32 v11, s2, v4, 2
	s_wait_alu 0xf1ff
	v_add_co_ci_u32_e64 v12, s2, 0, v9, s2
	v_sub_co_u32 v13, s2, v7, s18
	v_sub_co_ci_u32_e32 v8, vcc_lo, v6, v8, vcc_lo
	s_wait_alu 0xf1ff
	v_subrev_co_ci_u32_e64 v10, s2, 0, v10, s2
	s_delay_alu instid0(VALU_DEP_3) | instskip(NEXT) | instid1(VALU_DEP_3)
	v_cmp_le_u32_e32 vcc_lo, s18, v13
	v_cmp_eq_u32_e64 s2, s19, v8
	s_wait_alu 0xfffd
	v_cndmask_b32_e64 v13, 0, -1, vcc_lo
	v_cmp_le_u32_e32 vcc_lo, s19, v10
	s_wait_alu 0xfffd
	v_cndmask_b32_e64 v14, 0, -1, vcc_lo
	v_cmp_le_u32_e32 vcc_lo, s18, v7
	;; [unrolled: 3-line block ×3, first 2 shown]
	s_wait_alu 0xfffd
	v_cndmask_b32_e64 v15, 0, -1, vcc_lo
	v_cmp_eq_u32_e32 vcc_lo, s19, v10
	s_wait_alu 0xf1ff
	s_delay_alu instid0(VALU_DEP_2)
	v_cndmask_b32_e64 v7, v15, v7, s2
	s_wait_alu 0xfffd
	v_cndmask_b32_e32 v10, v14, v13, vcc_lo
	v_add_co_u32 v13, vcc_lo, v4, 1
	s_wait_alu 0xfffd
	v_add_co_ci_u32_e32 v14, vcc_lo, 0, v9, vcc_lo
	s_delay_alu instid0(VALU_DEP_3) | instskip(SKIP_2) | instid1(VALU_DEP_3)
	v_cmp_ne_u32_e32 vcc_lo, 0, v10
	s_wait_alu 0xfffd
	v_cndmask_b32_e32 v10, v13, v11, vcc_lo
	v_cndmask_b32_e32 v8, v14, v12, vcc_lo
	v_cmp_ne_u32_e32 vcc_lo, 0, v7
	s_wait_alu 0xfffd
	s_delay_alu instid0(VALU_DEP_2)
	v_dual_cndmask_b32 v7, v4, v10 :: v_dual_cndmask_b32 v8, v9, v8
.LBB0_4:                                ;   in Loop: Header=BB0_2 Depth=1
	s_wait_alu 0xfffe
	s_and_not1_saveexec_b32 s2, s20
	s_cbranch_execz .LBB0_6
; %bb.5:                                ;   in Loop: Header=BB0_2 Depth=1
	v_cvt_f32_u32_e32 v4, s18
	s_sub_co_i32 s20, 0, s18
	s_delay_alu instid0(VALU_DEP_1) | instskip(NEXT) | instid1(TRANS32_DEP_1)
	v_rcp_iflag_f32_e32 v4, v4
	v_mul_f32_e32 v4, 0x4f7ffffe, v4
	s_delay_alu instid0(VALU_DEP_1) | instskip(SKIP_1) | instid1(VALU_DEP_1)
	v_cvt_u32_f32_e32 v4, v4
	s_wait_alu 0xfffe
	v_mul_lo_u32 v7, s20, v4
	s_delay_alu instid0(VALU_DEP_1) | instskip(NEXT) | instid1(VALU_DEP_1)
	v_mul_hi_u32 v7, v4, v7
	v_add_nc_u32_e32 v4, v4, v7
	s_delay_alu instid0(VALU_DEP_1) | instskip(NEXT) | instid1(VALU_DEP_1)
	v_mul_hi_u32 v4, v5, v4
	v_mul_lo_u32 v7, v4, s18
	v_add_nc_u32_e32 v8, 1, v4
	s_delay_alu instid0(VALU_DEP_2) | instskip(NEXT) | instid1(VALU_DEP_1)
	v_sub_nc_u32_e32 v7, v5, v7
	v_subrev_nc_u32_e32 v9, s18, v7
	v_cmp_le_u32_e32 vcc_lo, s18, v7
	s_wait_alu 0xfffd
	s_delay_alu instid0(VALU_DEP_2) | instskip(NEXT) | instid1(VALU_DEP_1)
	v_dual_cndmask_b32 v7, v7, v9 :: v_dual_cndmask_b32 v4, v4, v8
	v_cmp_le_u32_e32 vcc_lo, s18, v7
	s_delay_alu instid0(VALU_DEP_2) | instskip(SKIP_1) | instid1(VALU_DEP_1)
	v_add_nc_u32_e32 v8, 1, v4
	s_wait_alu 0xfffd
	v_dual_cndmask_b32 v7, v4, v8 :: v_dual_mov_b32 v8, v3
.LBB0_6:                                ;   in Loop: Header=BB0_2 Depth=1
	s_wait_alu 0xfffe
	s_or_b32 exec_lo, exec_lo, s2
	s_load_b64 s[20:21], s[12:13], 0x0
	s_delay_alu instid0(VALU_DEP_1)
	v_mul_lo_u32 v4, v8, s18
	v_mul_lo_u32 v11, v7, s19
	v_mad_co_u64_u32 v[9:10], null, v7, s18, 0
	s_add_nc_u64 s[14:15], s[14:15], 1
	s_add_nc_u64 s[12:13], s[12:13], 8
	s_wait_alu 0xfffe
	v_cmp_ge_u64_e64 s2, s[14:15], s[6:7]
	s_add_nc_u64 s[16:17], s[16:17], 8
	s_delay_alu instid0(VALU_DEP_2) | instskip(NEXT) | instid1(VALU_DEP_3)
	v_add3_u32 v4, v10, v11, v4
	v_sub_co_u32 v5, vcc_lo, v5, v9
	s_wait_alu 0xfffd
	s_delay_alu instid0(VALU_DEP_2) | instskip(SKIP_3) | instid1(VALU_DEP_2)
	v_sub_co_ci_u32_e32 v4, vcc_lo, v6, v4, vcc_lo
	s_and_b32 vcc_lo, exec_lo, s2
	s_wait_kmcnt 0x0
	v_mul_lo_u32 v6, s21, v5
	v_mul_lo_u32 v4, s20, v4
	v_mad_co_u64_u32 v[1:2], null, s20, v5, v[1:2]
	s_delay_alu instid0(VALU_DEP_1)
	v_add3_u32 v2, v6, v2, v4
	s_wait_alu 0xfffe
	s_cbranch_vccnz .LBB0_9
; %bb.7:                                ;   in Loop: Header=BB0_2 Depth=1
	v_dual_mov_b32 v5, v7 :: v_dual_mov_b32 v6, v8
	s_branch .LBB0_2
.LBB0_8:
	v_dual_mov_b32 v8, v6 :: v_dual_mov_b32 v7, v5
.LBB0_9:
	s_lshl_b64 s[2:3], s[6:7], 3
	v_mul_hi_u32 v5, 0x147ae15, v0
	s_wait_alu 0xfffe
	s_add_nc_u64 s[2:3], s[10:11], s[2:3]
                                        ; implicit-def: $vgpr42_vgpr43
                                        ; implicit-def: $vgpr78_vgpr79
                                        ; implicit-def: $vgpr62_vgpr63
                                        ; implicit-def: $vgpr58_vgpr59
                                        ; implicit-def: $vgpr46_vgpr47
                                        ; implicit-def: $vgpr34_vgpr35
                                        ; implicit-def: $vgpr38_vgpr39
                                        ; implicit-def: $vgpr18_vgpr19
                                        ; implicit-def: $vgpr14_vgpr15
                                        ; implicit-def: $vgpr22_vgpr23
                                        ; implicit-def: $vgpr26_vgpr27
                                        ; implicit-def: $vgpr54_vgpr55
                                        ; implicit-def: $vgpr50_vgpr51
                                        ; implicit-def: $vgpr10_vgpr11
                                        ; implicit-def: $vgpr66_vgpr67
                                        ; implicit-def: $vgpr74_vgpr75
                                        ; implicit-def: $vgpr70_vgpr71
                                        ; implicit-def: $vgpr30_vgpr31
	s_load_b64 s[2:3], s[2:3], 0x0
	s_load_b64 s[0:1], s[0:1], 0x20
	s_wait_kmcnt 0x0
	v_mul_lo_u32 v3, s2, v8
	v_mul_lo_u32 v4, s3, v7
	v_mad_co_u64_u32 v[1:2], null, s2, v7, v[1:2]
	v_cmp_gt_u64_e32 vcc_lo, s[0:1], v[7:8]
                                        ; implicit-def: $vgpr6_vgpr7
	s_delay_alu instid0(VALU_DEP_2) | instskip(SKIP_1) | instid1(VALU_DEP_2)
	v_add3_u32 v2, v4, v2, v3
	v_mul_u32_u24_e32 v3, 0xc8, v5
	v_lshlrev_b64_e32 v[82:83], 4, v[1:2]
	s_delay_alu instid0(VALU_DEP_2)
	v_sub_nc_u32_e32 v80, v0, v3
                                        ; implicit-def: $vgpr2_vgpr3
	s_and_saveexec_b32 s1, vcc_lo
; %bb.10:
	v_mov_b32_e32 v81, 0
	s_delay_alu instid0(VALU_DEP_3) | instskip(SKIP_2) | instid1(VALU_DEP_3)
	v_add_co_u32 v2, s0, s8, v82
	s_wait_alu 0xf1ff
	v_add_co_ci_u32_e64 v3, s0, s9, v83, s0
	v_lshlrev_b64_e32 v[0:1], 4, v[80:81]
	s_delay_alu instid0(VALU_DEP_1) | instskip(SKIP_1) | instid1(VALU_DEP_2)
	v_add_co_u32 v12, s0, v2, v0
	s_wait_alu 0xf1ff
	v_add_co_ci_u32_e64 v13, s0, v3, v1, s0
	s_clause 0x13
	global_load_b128 v[28:31], v[12:13], off
	global_load_b128 v[44:47], v[12:13], off offset:3200
	global_load_b128 v[40:43], v[12:13], off offset:6400
	;; [unrolled: 1-line block ×19, first 2 shown]
; %bb.11:
	s_wait_alu 0xfffe
	s_or_b32 exec_lo, exec_lo, s1
	s_wait_loadcnt 0xf
	v_add_f64_e32 v[88:89], v[76:77], v[28:29]
	v_add_f64_e32 v[90:91], v[78:79], v[30:31]
	s_wait_loadcnt 0xd
	v_add_f64_e32 v[92:93], v[40:41], v[68:69]
	v_add_f64_e32 v[94:95], v[42:43], v[70:71]
	s_wait_loadcnt 0x5
	v_add_f64_e32 v[108:109], v[62:63], v[66:67]
	s_wait_loadcnt 0x1
	v_add_f64_e32 v[110:111], v[2:3], v[70:71]
	v_add_f64_e32 v[96:97], v[56:57], v[72:73]
	v_add_f64_e32 v[98:99], v[76:77], v[8:9]
	v_add_f64_e32 v[100:101], v[58:59], v[74:75]
	v_add_f64_e32 v[102:103], v[78:79], v[10:11]
	v_add_f64_e32 v[126:127], v[18:19], v[26:27]
	v_add_f64_e64 v[84:85], v[76:77], -v[72:73]
	v_add_f64_e64 v[112:113], v[72:73], -v[76:77]
	;; [unrolled: 1-line block ×3, first 2 shown]
	s_wait_loadcnt 0x0
	v_add_f64_e32 v[146:147], v[34:35], v[14:15]
	v_add_f64_e32 v[104:105], v[60:61], v[64:65]
	;; [unrolled: 1-line block ×3, first 2 shown]
	v_add_f64_e64 v[86:87], v[78:79], -v[10:11]
	v_add_f64_e64 v[122:123], v[78:79], -v[74:75]
	;; [unrolled: 1-line block ×7, first 2 shown]
	v_add_f64_e32 v[114:115], v[36:37], v[20:21]
	v_add_f64_e32 v[116:117], v[4:5], v[52:53]
	;; [unrolled: 1-line block ×7, first 2 shown]
	v_add_f64_e64 v[130:131], v[8:9], -v[56:57]
	v_add_f64_e64 v[132:133], v[56:57], -v[8:9]
	s_mov_b32 s6, 0x134454ff
	s_mov_b32 s7, 0xbfee6f0e
	;; [unrolled: 1-line block ×3, first 2 shown]
	s_wait_alu 0xfffe
	s_mov_b32 s2, s6
	v_add_f64_e64 v[134:135], v[10:11], -v[58:59]
	v_add_f64_e32 v[72:73], v[72:73], v[88:89]
	v_add_f64_e32 v[74:75], v[74:75], v[90:91]
	;; [unrolled: 1-line block ×6, first 2 shown]
	v_fma_f64 v[108:109], v[108:109], -0.5, v[42:43]
	v_add_f64_e64 v[60:61], v[60:61], -v[64:65]
	v_fma_f64 v[42:43], v[110:111], -0.5, v[42:43]
	v_fma_f64 v[96:97], v[96:97], -0.5, v[28:29]
	;; [unrolled: 1-line block ×5, first 2 shown]
	v_add_f64_e32 v[100:101], v[34:35], v[50:51]
	v_add_f64_e64 v[102:103], v[32:33], -v[12:13]
	v_fma_f64 v[110:111], v[126:127], -0.5, v[50:51]
	v_fma_f64 v[50:51], v[146:147], -0.5, v[50:51]
	v_add_f64_e64 v[136:137], v[58:59], -v[10:11]
	v_add_f64_e64 v[138:139], v[70:71], -v[2:3]
	v_add_f64_e64 v[144:145], v[70:71], -v[62:63]
	v_add_f64_e64 v[156:157], v[2:3], -v[66:67]
	v_fma_f64 v[104:105], v[104:105], -0.5, v[40:41]
	v_add_f64_e64 v[70:71], v[62:63], -v[70:71]
	v_add_f64_e64 v[62:63], v[62:63], -v[66:67]
	v_fma_f64 v[40:41], v[106:107], -0.5, v[40:41]
	v_add_f64_e64 v[126:127], v[66:67], -v[2:3]
	v_add_f64_e64 v[150:151], v[0:1], -v[64:65]
	;; [unrolled: 1-line block ×3, first 2 shown]
	v_fma_f64 v[114:115], v[114:115], -0.5, v[44:45]
	v_fma_f64 v[44:45], v[116:117], -0.5, v[44:45]
	;; [unrolled: 1-line block ×4, first 2 shown]
	v_add_f64_e64 v[118:119], v[32:33], -v[24:25]
	v_add_f64_e64 v[32:33], v[24:25], -v[32:33]
	;; [unrolled: 1-line block ×3, first 2 shown]
	v_add_f64_e32 v[112:113], v[132:133], v[112:113]
	s_mov_b32 s12, 0x4755a5e
	s_mov_b32 s13, 0xbfe2cf23
	v_add_f64_e32 v[56:57], v[56:57], v[72:73]
	v_add_f64_e64 v[72:73], v[24:25], -v[16:17]
	v_add_f64_e32 v[58:59], v[58:59], v[74:75]
	v_add_f64_e32 v[64:65], v[64:65], v[88:89]
	v_fma_f64 v[74:75], v[92:93], -0.5, v[48:49]
	v_fma_f64 v[48:49], v[94:95], -0.5, v[48:49]
	s_wait_alu 0xfffe
	v_fma_f64 v[92:93], v[68:69], s[2:3], v[108:109]
	v_fma_f64 v[94:95], v[68:69], s[6:7], v[108:109]
	;; [unrolled: 1-line block ×4, first 2 shown]
	v_add_f64_e32 v[66:67], v[66:67], v[90:91]
	v_add_f64_e32 v[88:89], v[36:37], v[148:149]
	;; [unrolled: 1-line block ×3, first 2 shown]
	v_add_f64_e64 v[108:109], v[34:35], -v[14:15]
	v_add_f64_e64 v[34:35], v[26:27], -v[34:35]
	v_add_f64_e32 v[24:25], v[24:25], v[164:165]
	v_add_f64_e64 v[148:149], v[14:15], -v[18:19]
	v_fma_f64 v[154:155], v[102:103], s[2:3], v[110:111]
	v_add_f64_e32 v[100:101], v[26:27], v[100:101]
	v_add_f64_e64 v[26:27], v[26:27], -v[18:19]
	v_add_f64_e64 v[164:165], v[18:19], -v[14:15]
	v_fma_f64 v[110:111], v[102:103], s[6:7], v[110:111]
	s_mov_b32 s11, 0x3fe2cf23
	s_mov_b32 s10, s12
	v_add_f64_e32 v[144:145], v[156:157], v[144:145]
	v_fma_f64 v[156:157], v[124:125], s[2:3], v[28:29]
	v_fma_f64 v[28:29], v[124:125], s[6:7], v[28:29]
	v_add_f64_e32 v[70:71], v[126:127], v[70:71]
	v_fma_f64 v[126:127], v[62:63], s[2:3], v[40:41]
	v_fma_f64 v[40:41], v[62:63], s[6:7], v[40:41]
	v_add_f64_e64 v[76:77], v[76:77], -v[8:9]
	v_add_f64_e64 v[158:159], v[54:55], -v[6:7]
	;; [unrolled: 1-line block ×5, first 2 shown]
	s_mov_b32 s14, 0x372fe950
	s_mov_b32 s15, 0x3fd3c6ef
	v_add_f64_e64 v[160:161], v[52:53], -v[36:37]
	v_add_f64_e64 v[162:163], v[36:37], -v[52:53]
	v_fma_f64 v[132:133], v[72:73], s[6:7], v[50:51]
	v_fma_f64 v[50:51], v[72:73], s[2:3], v[50:51]
	v_add_f64_e64 v[36:37], v[36:37], -v[20:21]
	v_add_f64_e32 v[140:141], v[150:151], v[140:141]
	v_add_f64_e64 v[52:53], v[52:53], -v[4:5]
	v_fma_f64 v[92:93], v[60:61], s[10:11], v[92:93]
	v_fma_f64 v[60:61], v[60:61], s[12:13], v[94:95]
	;; [unrolled: 1-line block ×6, first 2 shown]
	v_add_f64_e64 v[68:69], v[12:13], -v[16:17]
	v_add_f64_e32 v[142:143], v[152:153], v[142:143]
	v_add_f64_e32 v[88:89], v[20:21], v[88:89]
	;; [unrolled: 1-line block ×4, first 2 shown]
	v_fma_f64 v[148:149], v[72:73], s[10:11], v[154:155]
	v_add_f64_e64 v[154:155], v[16:17], -v[12:13]
	v_add_f64_e32 v[16:17], v[16:17], v[24:25]
	v_add_f64_e32 v[34:35], v[164:165], v[34:35]
	v_fma_f64 v[164:165], v[26:27], s[2:3], v[48:49]
	v_fma_f64 v[72:73], v[72:73], s[12:13], v[110:111]
	;; [unrolled: 1-line block ×11, first 2 shown]
	v_add_f64_e32 v[18:19], v[18:19], v[100:101]
	v_add_f64_e32 v[84:85], v[130:131], v[84:85]
	v_fma_f64 v[24:25], v[38:39], s[2:3], v[44:45]
	v_fma_f64 v[44:45], v[38:39], s[6:7], v[44:45]
	s_mov_b32 s19, 0xbfd3c6ef
	s_wait_alu 0xfffe
	s_mov_b32 s18, s14
	v_add_f64_e32 v[78:79], v[136:137], v[78:79]
	v_fma_f64 v[132:133], v[102:103], s[10:11], v[132:133]
	v_fma_f64 v[50:51], v[102:103], s[12:13], v[50:51]
	;; [unrolled: 1-line block ×4, first 2 shown]
	v_add_f64_e64 v[86:87], v[4:5], -v[20:21]
	v_fma_f64 v[92:93], v[144:145], s[14:15], v[92:93]
	v_fma_f64 v[60:61], v[144:145], s[14:15], v[60:61]
	;; [unrolled: 1-line block ×8, first 2 shown]
	v_add_f64_e32 v[68:69], v[68:69], v[118:119]
	v_fma_f64 v[70:71], v[158:159], s[6:7], v[114:115]
	v_fma_f64 v[114:115], v[158:159], s[2:3], v[114:115]
	;; [unrolled: 1-line block ×3, first 2 shown]
	v_add_f64_e32 v[32:33], v[154:155], v[32:33]
	v_add_f64_e64 v[20:21], v[20:21], -v[4:5]
	v_add_f64_e64 v[118:119], v[6:7], -v[22:23]
	v_fma_f64 v[152:153], v[108:109], s[12:13], v[164:165]
	v_add_f64_e64 v[22:23], v[22:23], -v[6:7]
	v_fma_f64 v[110:111], v[26:27], s[12:13], v[110:111]
	v_fma_f64 v[48:49], v[108:109], s[10:11], v[48:49]
	v_fma_f64 v[26:27], v[26:27], s[10:11], v[74:75]
	v_fma_f64 v[74:75], v[52:53], s[6:7], v[116:117]
	v_fma_f64 v[28:29], v[112:113], s[14:15], v[28:29]
	v_fma_f64 v[108:109], v[142:143], s[14:15], v[126:127]
	v_fma_f64 v[40:41], v[142:143], s[14:15], v[40:41]
	s_mov_b32 s16, 0x9b97f4a8
	v_fma_f64 v[98:99], v[128:129], s[12:13], v[98:99]
	s_mov_b32 s17, 0x3fe9e377
	v_add_f64_e32 v[8:9], v[8:9], v[56:57]
	v_fma_f64 v[24:25], v[158:159], s[12:13], v[24:25]
	v_fma_f64 v[44:45], v[158:159], s[10:11], v[44:45]
	s_mov_b32 s21, 0xbfe9e377
	s_mov_b32 s20, s16
	v_add_f64_e32 v[88:89], v[4:5], v[88:89]
	v_fma_f64 v[132:133], v[34:35], s[14:15], v[132:133]
	v_fma_f64 v[34:35], v[34:35], s[14:15], v[50:51]
	;; [unrolled: 1-line block ×5, first 2 shown]
	v_mul_f64_e32 v[120:121], s[12:13], v[92:93]
	v_fma_f64 v[96:97], v[124:125], s[10:11], v[96:97]
	v_fma_f64 v[94:95], v[140:141], s[14:15], v[94:95]
	v_add_f64_e32 v[102:103], v[134:135], v[122:123]
	v_fma_f64 v[104:105], v[76:77], s[10:11], v[104:105]
	v_fma_f64 v[30:31], v[76:77], s[12:13], v[30:31]
	;; [unrolled: 1-line block ×4, first 2 shown]
	v_mul_f64_e32 v[124:125], s[6:7], v[138:139]
	v_mul_f64_e32 v[126:127], s[6:7], v[42:43]
	v_fma_f64 v[116:117], v[128:129], s[10:11], v[150:151]
	v_fma_f64 v[46:47], v[36:37], s[2:3], v[46:47]
	;; [unrolled: 1-line block ×3, first 2 shown]
	v_mul_f64_e32 v[128:129], s[12:13], v[60:61]
	v_add_f64_e32 v[86:87], v[86:87], v[160:161]
	v_fma_f64 v[122:123], v[32:33], s[14:15], v[152:153]
	v_fma_f64 v[70:71], v[38:39], s[12:13], v[70:71]
	;; [unrolled: 1-line block ×4, first 2 shown]
	v_mul_f64_e32 v[114:115], s[12:13], v[144:145]
	v_add_f64_e32 v[20:21], v[20:21], v[162:163]
	v_fma_f64 v[32:33], v[32:33], s[14:15], v[48:49]
	v_fma_f64 v[26:27], v[68:69], s[14:15], v[26:27]
	s_wait_alu 0xfffe
	v_mul_f64_e32 v[42:43], s[18:19], v[42:43]
	v_mul_f64_e32 v[56:57], s[16:17], v[92:93]
	v_add_f64_e32 v[22:23], v[22:23], v[54:55]
	v_add_f64_e32 v[54:55], v[0:1], v[64:65]
	v_mul_f64_e32 v[60:61], s[20:21], v[60:61]
	v_add_f64_e32 v[106:107], v[118:119], v[106:107]
	v_add_f64_e32 v[118:119], v[12:13], v[16:17]
	;; [unrolled: 1-line block ×4, first 2 shown]
	v_cmp_gt_u32_e64 s0, 0x64, v80
	v_mul_f64_e32 v[130:131], s[6:7], v[132:133]
	v_mul_f64_e32 v[48:49], s[6:7], v[34:35]
	;; [unrolled: 1-line block ×3, first 2 shown]
	v_fma_f64 v[64:65], v[84:85], s[14:15], v[100:101]
	v_fma_f64 v[72:73], v[36:37], s[10:11], v[72:73]
	;; [unrolled: 1-line block ×3, first 2 shown]
	v_mul_f64_e32 v[74:75], s[2:3], v[108:109]
	v_fma_f64 v[92:93], v[94:95], s[16:17], v[120:121]
	v_mul_f64_e32 v[34:35], s[18:19], v[34:35]
	v_fma_f64 v[84:85], v[84:85], s[14:15], v[96:97]
	;; [unrolled: 2-line block ×3, first 2 shown]
	v_fma_f64 v[0:1], v[52:53], s[10:11], v[112:113]
	v_fma_f64 v[108:109], v[108:109], s[14:15], v[124:125]
	;; [unrolled: 1-line block ×8, first 2 shown]
	v_mul_f64_e32 v[100:101], s[2:3], v[122:123]
	v_fma_f64 v[70:71], v[86:87], s[14:15], v[70:71]
	v_mul_f64_e32 v[52:53], s[10:11], v[110:111]
	v_fma_f64 v[38:39], v[86:87], s[14:15], v[38:39]
	v_fma_f64 v[110:111], v[110:111], s[16:17], v[114:115]
	;; [unrolled: 1-line block ×4, first 2 shown]
	v_add_f64_e32 v[86:87], v[6:7], v[90:91]
	v_fma_f64 v[40:41], v[40:41], s[2:3], v[42:43]
	v_fma_f64 v[56:57], v[94:95], s[10:11], v[56:57]
	v_add_f64_e32 v[90:91], v[14:15], v[18:19]
	v_add_f64_e64 v[10:11], v[8:9], -v[54:55]
	v_fma_f64 v[42:43], v[62:63], s[10:11], v[60:61]
	v_add_f64_e32 v[20:21], v[88:89], v[118:119]
	v_add_f64_e64 v[30:31], v[88:89], -v[118:119]
	v_fma_f64 v[114:115], v[122:123], s[14:15], v[130:131]
	v_fma_f64 v[48:49], v[32:33], s[18:19], v[48:49]
	;; [unrolled: 1-line block ×6, first 2 shown]
	v_add_f64_e32 v[2:3], v[64:65], v[92:93]
	v_fma_f64 v[122:123], v[32:33], s[2:3], v[34:35]
	v_add_f64_e64 v[12:13], v[64:65], -v[92:93]
	v_fma_f64 v[124:125], v[26:27], s[10:11], v[50:51]
	v_fma_f64 v[94:95], v[22:23], s[14:15], v[0:1]
	v_add_f64_e32 v[0:1], v[54:55], v[8:9]
	v_add_f64_e32 v[4:5], v[76:77], v[108:109]
	;; [unrolled: 1-line block ×3, first 2 shown]
	v_fma_f64 v[104:105], v[22:23], s[14:15], v[46:47]
	v_add_f64_e64 v[14:15], v[76:77], -v[108:109]
	v_add_f64_e32 v[8:9], v[84:85], v[96:97]
	v_add_f64_e64 v[16:17], v[28:29], -v[112:113]
	v_fma_f64 v[100:101], v[132:133], s[14:15], v[100:101]
	v_add_f64_e64 v[18:19], v[84:85], -v[96:97]
	v_fma_f64 v[106:107], v[144:145], s[16:17], v[52:53]
	v_add_f64_e64 v[54:55], v[58:59], -v[66:67]
	v_add_f64_e32 v[22:23], v[70:71], v[110:111]
	v_add_f64_e64 v[32:33], v[70:71], -v[110:111]
	v_add_f64_e32 v[50:51], v[78:79], v[40:41]
	v_add_f64_e64 v[64:65], v[78:79], -v[40:41]
	v_mul_u32_u24_e32 v40, 10, v80
	v_add_f64_e32 v[46:47], v[116:117], v[56:57]
	v_add_f64_e32 v[52:53], v[98:99], v[42:43]
	v_add_f64_e64 v[56:57], v[116:117], -v[56:57]
	s_delay_alu instid0(VALU_DEP_4)
	v_lshl_add_u32 v76, v40, 3, 0
	v_add_f64_e32 v[24:25], v[120:121], v[114:115]
	v_add_f64_e32 v[26:27], v[44:45], v[48:49]
	;; [unrolled: 1-line block ×3, first 2 shown]
	v_add_f64_e64 v[34:35], v[120:121], -v[114:115]
	v_add_f64_e64 v[36:37], v[44:45], -v[48:49]
	;; [unrolled: 1-line block ×3, first 2 shown]
	v_add_nc_u32_e32 v115, 0xc8, v80
	v_add_f64_e32 v[44:45], v[66:67], v[58:59]
	v_add_f64_e32 v[48:49], v[102:103], v[74:75]
	v_add_f64_e64 v[58:59], v[102:103], -v[74:75]
	v_add_f64_e32 v[68:69], v[86:87], v[90:91]
	v_add_f64_e64 v[86:87], v[86:87], -v[90:91]
	;; [unrolled: 2-line block ×3, first 2 shown]
	v_mad_i32_i24 v79, 0xffffffb8, v80, v76
	ds_store_b128 v76, v[0:3]
	ds_store_b128 v76, v[4:7] offset:16
	ds_store_b128 v76, v[8:11] offset:32
	;; [unrolled: 1-line block ×9, first 2 shown]
	v_and_b32_e32 v8, 0xff, v80
	v_add_f64_e32 v[72:73], v[94:95], v[100:101]
	v_add_f64_e32 v[74:75], v[104:105], v[122:123]
	v_add_f64_e64 v[88:89], v[60:61], -v[106:107]
	v_add_f64_e64 v[90:91], v[94:95], -v[100:101]
	v_add_f64_e32 v[70:71], v[60:61], v[106:107]
	v_add_f64_e64 v[92:93], v[104:105], -v[122:123]
	v_add_f64_e64 v[94:95], v[62:63], -v[124:125]
	v_and_b32_e32 v9, 0xffff, v115
	v_mul_lo_u16 v8, 0xcd, v8
	v_add_nc_u32_e32 v126, 0x3e00, v79
	v_add_nc_u32_e32 v129, 0x5600, v79
	;; [unrolled: 1-line block ×3, first 2 shown]
	v_mul_u32_u24_e32 v16, 0xcccd, v9
	v_lshrrev_b16 v119, 11, v8
	v_add_nc_u32_e32 v128, 0x4a00, v79
	v_add_nc_u32_e32 v127, 0x6400, v79
	;; [unrolled: 1-line block ×3, first 2 shown]
	v_lshrrev_b32_e32 v118, 19, v16
	v_mul_lo_u16 v16, v119, 10
	v_add_nc_u32_e32 v130, 0x7000, v79
	v_add_nc_u32_e32 v81, 0x2400, v79
	;; [unrolled: 1-line block ×3, first 2 shown]
	v_mul_lo_u16 v17, v118, 10
	v_sub_nc_u16 v16, v80, v16
	global_wb scope:SCOPE_SE
	s_wait_dscnt 0x0
	s_barrier_signal -1
	s_barrier_wait -1
	v_sub_nc_u16 v17, v115, v17
	v_and_b32_e32 v116, 0xff, v16
	global_inv scope:SCOPE_SE
	ds_load_2addr_b64 v[0:3], v79 offset1:200
	ds_load_2addr_b64 v[4:7], v114 offset0:16 offset1:216
	ds_load_2addr_b64 v[96:99], v124 offset0:32 offset1:232
	;; [unrolled: 1-line block ×3, first 2 shown]
	ds_load_2addr_b64 v[40:43], v125 offset1:200
	ds_load_2addr_b64 v[120:123], v126 offset0:16 offset1:216
	ds_load_2addr_b64 v[100:103], v128 offset0:32 offset1:232
	v_and_b32_e32 v117, 0xffff, v17
	v_mul_u32_u24_e32 v16, 9, v116
	ds_load_2addr_b64 v[12:15], v129 offset0:48 offset1:248
	ds_load_2addr_b64 v[104:107], v127 offset1:200
	ds_load_2addr_b64 v[8:11], v130 offset0:16 offset1:216
	global_wb scope:SCOPE_SE
	s_wait_dscnt 0x0
	s_barrier_signal -1
	s_barrier_wait -1
	v_lshlrev_b32_e32 v16, 4, v16
	global_inv scope:SCOPE_SE
	ds_store_b128 v76, v[44:47]
	ds_store_b128 v76, v[48:51] offset:16
	ds_store_b128 v76, v[52:55] offset:32
	;; [unrolled: 1-line block ×9, first 2 shown]
	global_wb scope:SCOPE_SE
	s_wait_dscnt 0x0
	s_barrier_signal -1
	s_barrier_wait -1
	global_inv scope:SCOPE_SE
	global_load_b128 v[44:47], v16, s[4:5] offset:16
	v_mul_u32_u24_e32 v17, 9, v117
	v_and_b32_e32 v119, 0xffff, v119
	v_lshlrev_b32_e32 v116, 3, v116
	v_lshlrev_b32_e32 v117, 3, v117
	s_delay_alu instid0(VALU_DEP_4)
	v_lshlrev_b32_e32 v17, 4, v17
	s_clause 0x10
	global_load_b128 v[48:51], v17, s[4:5] offset:16
	global_load_b128 v[52:55], v16, s[4:5] offset:48
	global_load_b128 v[56:59], v17, s[4:5] offset:48
	global_load_b128 v[64:67], v16, s[4:5] offset:80
	global_load_b128 v[68:71], v17, s[4:5] offset:80
	global_load_b128 v[75:78], v16, s[4:5] offset:112
	global_load_b128 v[108:111], v17, s[4:5] offset:112
	global_load_b128 v[131:134], v16, s[4:5] offset:32
	global_load_b128 v[135:138], v16, s[4:5] offset:64
	global_load_b128 v[139:142], v16, s[4:5] offset:96
	global_load_b128 v[143:146], v16, s[4:5] offset:128
	global_load_b128 v[24:27], v17, s[4:5] offset:32
	global_load_b128 v[28:31], v17, s[4:5] offset:64
	global_load_b128 v[32:35], v17, s[4:5] offset:96
	global_load_b128 v[36:39], v17, s[4:5] offset:128
	global_load_b128 v[20:23], v16, s[4:5]
	global_load_b128 v[16:19], v17, s[4:5]
	ds_load_2addr_b64 v[86:89], v124 offset0:32 offset1:232
	ds_load_2addr_b64 v[147:150], v125 offset1:200
	ds_load_2addr_b64 v[151:154], v128 offset0:32 offset1:232
	ds_load_2addr_b64 v[155:158], v127 offset1:200
	s_wait_loadcnt_dscnt 0x1003
	v_mul_f64_e32 v[84:85], v[88:89], v[50:51]
	v_mul_f64_e32 v[50:51], v[98:99], v[50:51]
	s_wait_loadcnt_dscnt 0xf02
	v_mul_f64_e32 v[94:95], v[147:148], v[54:55]
	v_mul_f64_e32 v[54:55], v[40:41], v[54:55]
	s_wait_loadcnt 0xe
	v_mul_f64_e32 v[112:113], v[149:150], v[58:59]
	v_mul_f64_e32 v[72:73], v[86:87], v[46:47]
	;; [unrolled: 1-line block ×4, first 2 shown]
	s_wait_loadcnt 0xd
	v_mul_f64_e32 v[161:162], v[100:101], v[66:67]
	s_wait_dscnt 0x1
	v_mul_f64_e32 v[159:160], v[151:152], v[66:67]
	s_wait_loadcnt_dscnt 0xb00
	v_mul_f64_e32 v[163:164], v[155:156], v[77:78]
	v_mul_f64_e32 v[165:166], v[104:105], v[77:78]
	s_wait_loadcnt 0xa
	v_mul_f64_e32 v[167:168], v[157:158], v[110:111]
	v_mul_f64_e32 v[110:111], v[106:107], v[110:111]
	v_fma_f64 v[92:93], v[88:89], v[48:49], -v[50:51]
	v_fma_f64 v[88:89], v[42:43], v[56:57], v[112:113]
	v_fma_f64 v[66:67], v[96:97], v[44:45], v[72:73]
	v_fma_f64 v[90:91], v[86:87], v[44:45], -v[46:47]
	v_fma_f64 v[86:87], v[98:99], v[48:49], v[84:85]
	ds_load_2addr_b64 v[44:47], v81 offset0:48 offset1:248
	v_fma_f64 v[98:99], v[40:41], v[52:53], v[94:95]
	v_fma_f64 v[96:97], v[147:148], v[52:53], -v[54:55]
	ds_load_2addr_b64 v[48:51], v126 offset0:16 offset1:216
	v_fma_f64 v[94:95], v[149:150], v[56:57], -v[58:59]
	ds_load_2addr_b64 v[52:55], v129 offset0:48 offset1:248
	ds_load_2addr_b64 v[56:59], v130 offset0:16 offset1:216
	v_mul_f64_e32 v[72:73], v[153:154], v[70:71]
	v_mul_f64_e32 v[70:71], v[102:103], v[70:71]
	v_fma_f64 v[77:78], v[151:152], v[64:65], -v[161:162]
	ds_load_2addr_b64 v[40:43], v114 offset0:16 offset1:216
	v_fma_f64 v[100:101], v[100:101], v[64:65], v[159:160]
	v_fma_f64 v[64:65], v[155:156], v[75:76], -v[165:166]
	s_wait_loadcnt_dscnt 0x904
	v_mul_f64_e32 v[112:113], v[44:45], v[133:134]
	v_mul_f64_e32 v[133:134], v[60:61], v[133:134]
	s_wait_loadcnt_dscnt 0x803
	v_mul_f64_e32 v[147:148], v[48:49], v[137:138]
	v_mul_f64_e32 v[137:138], v[120:121], v[137:138]
	s_wait_loadcnt_dscnt 0x702
	v_mul_f64_e32 v[149:150], v[52:53], v[141:142]
	s_wait_loadcnt_dscnt 0x601
	v_mul_f64_e32 v[151:152], v[56:57], v[145:146]
	v_mul_f64_e32 v[141:142], v[12:13], v[141:142]
	;; [unrolled: 1-line block ×3, first 2 shown]
	s_wait_loadcnt 0x4
	v_mul_f64_e32 v[155:156], v[50:51], v[30:31]
	s_wait_loadcnt 0x3
	v_mul_f64_e32 v[159:160], v[54:55], v[34:35]
	v_fma_f64 v[84:85], v[102:103], v[68:69], v[72:73]
	v_fma_f64 v[71:72], v[153:154], v[68:69], -v[70:71]
	v_fma_f64 v[73:74], v[104:105], v[75:76], v[163:164]
	v_mul_f64_e32 v[153:154], v[46:47], v[26:27]
	v_fma_f64 v[75:76], v[106:107], v[108:109], v[167:168]
	v_fma_f64 v[69:70], v[157:158], v[108:109], -v[110:111]
	s_wait_loadcnt 0x2
	v_mul_f64_e32 v[110:111], v[58:59], v[38:39]
	v_mul_f64_e32 v[104:105], v[62:63], v[26:27]
	;; [unrolled: 1-line block ×4, first 2 shown]
	s_wait_loadcnt_dscnt 0x100
	v_mul_f64_e32 v[102:103], v[40:41], v[22:23]
	v_lshrrev_b16 v68, 2, v115
	v_fma_f64 v[30:31], v[60:61], v[131:132], v[112:113]
	v_fma_f64 v[44:45], v[44:45], v[131:132], -v[133:134]
	v_mul_f64_e32 v[112:113], v[10:11], v[38:39]
	v_fma_f64 v[38:39], v[120:121], v[135:136], v[147:148]
	v_fma_f64 v[48:49], v[48:49], v[135:136], -v[137:138]
	v_mul_f64_e32 v[60:61], v[4:5], v[22:23]
	v_fma_f64 v[34:35], v[12:13], v[139:140], v[149:150]
	v_fma_f64 v[12:13], v[8:9], v[143:144], v[151:152]
	v_fma_f64 v[22:23], v[52:53], v[139:140], -v[141:142]
	v_fma_f64 v[8:9], v[56:57], v[143:144], -v[145:146]
	v_fma_f64 v[52:53], v[122:123], v[28:29], v[155:156]
	v_fma_f64 v[14:15], v[14:15], v[32:33], v[159:160]
	v_add_f64_e64 v[133:134], v[98:99], -v[66:67]
	v_add_f64_e64 v[145:146], v[86:87], -v[88:89]
	;; [unrolled: 1-line block ×3, first 2 shown]
	v_and_b32_e32 v68, 0xffff, v68
	v_add_f64_e64 v[135:136], v[100:101], -v[73:74]
	v_fma_f64 v[26:27], v[62:63], v[24:25], v[153:154]
	s_wait_loadcnt 0x0
	v_mul_f64_e32 v[62:63], v[42:43], v[18:19]
	v_add_f64_e64 v[147:148], v[75:76], -v[84:85]
	v_fma_f64 v[56:57], v[10:11], v[36:37], v[110:111]
	v_mul_f64_e32 v[110:111], v[6:7], v[18:19]
	v_fma_f64 v[46:47], v[46:47], v[24:25], -v[104:105]
	v_fma_f64 v[50:51], v[50:51], v[28:29], -v[106:107]
	;; [unrolled: 1-line block ×3, first 2 shown]
	v_add_f64_e32 v[24:25], v[98:99], v[100:101]
	v_add_f64_e32 v[28:29], v[66:67], v[73:74]
	;; [unrolled: 1-line block ×3, first 2 shown]
	v_fma_f64 v[54:55], v[4:5], v[20:21], v[102:103]
	v_add_f64_e32 v[4:5], v[96:97], v[77:78]
	v_fma_f64 v[10:11], v[58:59], v[36:37], -v[112:113]
	v_add_f64_e32 v[36:37], v[86:87], v[75:76]
	v_add_f64_e32 v[58:59], v[90:91], v[64:65]
	v_add_f64_e32 v[108:109], v[92:93], v[69:70]
	v_fma_f64 v[40:41], v[40:41], v[20:21], -v[60:61]
	v_add_f64_e64 v[20:21], v[66:67], -v[98:99]
	v_add_f64_e64 v[60:61], v[73:74], -v[100:101]
	;; [unrolled: 1-line block ×8, first 2 shown]
	ds_load_2addr_b64 v[104:107], v79 offset1:200
	v_add_f64_e32 v[102:103], v[94:95], v[71:72]
	v_add_f64_e64 v[141:142], v[48:49], -v[44:45]
	v_add_f64_e64 v[143:144], v[22:23], -v[8:9]
	v_add_f64_e32 v[153:154], v[2:3], v[86:87]
	v_add_f64_e64 v[161:162], v[84:85], -v[75:76]
	v_add_f64_e32 v[171:172], v[48:49], v[22:23]
	v_add_f64_e64 v[86:87], v[86:87], -v[75:76]
	global_wb scope:SCOPE_SE
	s_wait_dscnt 0x0
	s_barrier_signal -1
	s_barrier_wait -1
	global_inv scope:SCOPE_SE
	v_add_f64_e64 v[149:150], v[26:27], -v[52:53]
	v_fma_f64 v[62:63], v[6:7], v[16:17], v[62:63]
	v_add_f64_e64 v[163:164], v[52:53], -v[26:27]
	v_add_f64_e64 v[151:152], v[56:57], -v[14:15]
	v_fma_f64 v[42:43], v[42:43], v[16:17], -v[110:111]
	v_add_f64_e32 v[110:111], v[0:1], v[66:67]
	v_add_f64_e64 v[6:7], v[46:47], -v[50:51]
	v_add_f64_e32 v[155:156], v[104:105], v[90:91]
	v_fma_f64 v[165:166], v[24:25], -0.5, v[0:1]
	v_fma_f64 v[167:168], v[28:29], -0.5, v[0:1]
	;; [unrolled: 1-line block ×3, first 2 shown]
	v_add_f64_e64 v[24:25], v[14:15], -v[56:57]
	v_add_f64_e64 v[16:17], v[10:11], -v[18:19]
	v_fma_f64 v[36:37], v[36:37], -0.5, v[2:3]
	v_fma_f64 v[169:170], v[4:5], -0.5, v[104:105]
	v_fma_f64 v[58:59], v[58:59], -0.5, v[104:105]
	v_fma_f64 v[104:105], v[108:109], -0.5, v[106:107]
	v_add_f64_e64 v[108:109], v[90:91], -v[96:97]
	v_add_f64_e32 v[0:1], v[20:21], v[60:61]
	v_add_f64_e64 v[60:61], v[64:65], -v[77:78]
	v_add_f64_e32 v[112:113], v[112:113], v[120:121]
	;; [unrolled: 2-line block ×6, first 2 shown]
	v_add_f64_e32 v[147:148], v[30:31], v[12:13]
	v_add_f64_e32 v[157:158], v[106:107], v[92:93]
	v_add_f64_e64 v[28:29], v[50:51], -v[46:47]
	v_fma_f64 v[102:103], v[102:103], -0.5, v[106:107]
	v_add_f64_e64 v[106:107], v[18:19], -v[10:11]
	v_add_f64_e32 v[139:140], v[141:142], v[143:144]
	v_add_f64_e64 v[141:142], v[94:95], -v[92:93]
	v_add_f64_e64 v[143:144], v[71:72], -v[69:70]
	v_add_f64_e32 v[20:21], v[159:160], v[161:162]
	v_add_f64_e32 v[159:160], v[52:53], v[14:15]
	v_add_f64_e64 v[90:91], v[90:91], -v[64:65]
	v_add_f64_e32 v[145:146], v[149:150], v[151:152]
	v_add_f64_e32 v[151:152], v[38:39], v[34:35]
	;; [unrolled: 1-line block ×3, first 2 shown]
	v_add_f64_e64 v[98:99], v[98:99], -v[100:101]
	v_add_f64_e64 v[92:93], v[92:93], -v[69:70]
	v_add_f64_e32 v[153:154], v[153:154], v[88:89]
	v_add_f64_e64 v[88:89], v[88:89], -v[84:85]
	v_add_f64_e32 v[161:162], v[163:164], v[24:25]
	v_add_f64_e32 v[149:150], v[6:7], v[16:17]
	;; [unrolled: 1-line block ×6, first 2 shown]
	v_add_f64_e64 v[30:31], v[30:31], -v[12:13]
	v_add_f64_e32 v[16:17], v[120:121], v[131:132]
	v_add_f64_e32 v[120:121], v[40:41], v[44:45]
	v_add_f64_e64 v[131:132], v[48:49], -v[22:23]
	v_add_f64_e64 v[44:45], v[44:45], -v[8:9]
	v_add_f64_e32 v[24:25], v[133:134], v[137:138]
	v_add_f64_e32 v[137:138], v[62:63], v[26:27]
	v_fma_f64 v[133:134], v[147:148], -0.5, v[54:55]
	v_fma_f64 v[147:148], v[171:172], -0.5, v[40:41]
	v_add_f64_e64 v[26:27], v[26:27], -v[56:57]
	v_add_f64_e32 v[106:107], v[28:29], v[106:107]
	v_add_f64_e32 v[28:29], v[141:142], v[143:144]
	;; [unrolled: 1-line block ×3, first 2 shown]
	v_fma_f64 v[141:142], v[159:160], -0.5, v[62:63]
	v_fma_f64 v[54:55], v[151:152], -0.5, v[54:55]
	v_add_f64_e32 v[100:101], v[110:111], v[100:101]
	v_add_f64_e32 v[151:152], v[155:156], v[96:97]
	v_add_f64_e64 v[96:97], v[96:97], -v[77:78]
	v_add_f64_e32 v[155:156], v[157:158], v[94:95]
	v_add_f64_e64 v[94:95], v[94:95], -v[71:72]
	v_add_f64_e64 v[157:158], v[66:67], -v[73:74]
	v_add_f64_e32 v[84:85], v[153:154], v[84:85]
	v_mul_u32_u24_e32 v66, 0x147b, v68
	v_mov_b32_e32 v68, 0
	v_fma_f64 v[62:63], v[163:164], -0.5, v[62:63]
	v_fma_f64 v[163:164], v[90:91], s[2:3], v[165:166]
	v_fma_f64 v[40:41], v[60:61], -0.5, v[40:41]
	v_add_f64_e32 v[60:61], v[46:47], v[10:11]
	v_add_f64_e32 v[108:109], v[108:109], v[38:39]
	v_add_f64_e64 v[38:39], v[38:39], -v[34:35]
	v_add_f64_e32 v[48:49], v[120:121], v[48:49]
	v_add_f64_e32 v[137:138], v[137:138], v[52:53]
	v_fma_f64 v[120:121], v[131:132], s[2:3], v[133:134]
	v_fma_f64 v[133:134], v[131:132], s[6:7], v[133:134]
	v_add_f64_e64 v[52:53], v[52:53], -v[14:15]
	v_fma_f64 v[143:144], v[143:144], -0.5, v[42:43]
	v_fma_f64 v[159:160], v[96:97], s[6:7], v[167:168]
	v_add_f64_e32 v[71:72], v[155:156], v[71:72]
	v_fma_f64 v[60:61], v[60:61], -0.5, v[42:43]
	v_add_f64_e32 v[42:43], v[42:43], v[46:47]
	v_add_f64_e32 v[34:35], v[108:109], v[34:35]
	v_fma_f64 v[108:109], v[44:45], s[6:7], v[54:55]
	v_fma_f64 v[54:55], v[44:45], s[2:3], v[54:55]
	;; [unrolled: 1-line block ×4, first 2 shown]
	v_add_f64_e64 v[46:47], v[46:47], -v[10:11]
	v_fma_f64 v[120:121], v[44:45], s[12:13], v[120:121]
	v_fma_f64 v[44:45], v[44:45], s[10:11], v[133:134]
	;; [unrolled: 1-line block ×4, first 2 shown]
	v_add_f64_e32 v[14:15], v[137:138], v[14:15]
	v_add_f64_e32 v[22:23], v[48:49], v[22:23]
	;; [unrolled: 1-line block ×3, first 2 shown]
	v_fma_f64 v[77:78], v[157:158], s[2:3], v[169:170]
	v_fma_f64 v[137:138], v[98:99], s[6:7], v[58:59]
	;; [unrolled: 1-line block ×3, first 2 shown]
	v_add_f64_e32 v[42:43], v[42:43], v[50:51]
	v_add_f64_e64 v[50:51], v[50:51], -v[18:19]
	v_fma_f64 v[108:109], v[131:132], s[12:13], v[108:109]
	v_fma_f64 v[54:55], v[131:132], s[10:11], v[54:55]
	;; [unrolled: 1-line block ×6, first 2 shown]
	v_add_f64_e32 v[12:13], v[34:35], v[12:13]
	v_fma_f64 v[133:134], v[38:39], s[10:11], v[133:134]
	v_fma_f64 v[38:39], v[38:39], s[12:13], v[147:148]
	;; [unrolled: 1-line block ×4, first 2 shown]
	v_add_f64_e32 v[34:35], v[84:85], v[75:76]
	v_add_f64_e32 v[14:15], v[14:15], v[56:57]
	v_fma_f64 v[56:57], v[98:99], s[10:11], v[77:78]
	v_fma_f64 v[44:45], v[135:136], s[14:15], v[44:45]
	;; [unrolled: 1-line block ×4, first 2 shown]
	v_add_f64_e32 v[8:9], v[22:23], v[8:9]
	v_add_f64_e32 v[22:23], v[48:49], v[64:65]
	;; [unrolled: 1-line block ×3, first 2 shown]
	v_add_nc_u32_e32 v131, 0xffffff9c, v80
	v_add_f64_e32 v[18:19], v[42:43], v[18:19]
	v_add_f64_e32 v[42:43], v[100:101], v[73:74]
	v_fma_f64 v[54:55], v[112:113], s[14:15], v[54:55]
	v_fma_f64 v[110:111], v[139:140], s[14:15], v[110:111]
	;; [unrolled: 1-line block ×14, first 2 shown]
	v_add_f64_e32 v[10:11], v[18:19], v[10:11]
	v_add_f64_e32 v[18:19], v[42:43], v[12:13]
	v_add_f64_e64 v[12:13], v[42:43], -v[12:13]
	v_add_f64_e32 v[42:43], v[34:35], v[14:15]
	v_add_f64_e64 v[14:15], v[34:35], -v[14:15]
	v_fma_f64 v[34:35], v[6:7], s[14:15], v[56:57]
	v_fma_f64 v[40:41], v[106:107], s[14:15], v[40:41]
	;; [unrolled: 1-line block ×6, first 2 shown]
	v_mul_u32_u24_e32 v167, 0x320, v119
	v_mul_u32_u24_e32 v168, 0x320, v118
	v_fma_f64 v[143:144], v[50:51], s[12:13], v[143:144]
	v_fma_f64 v[50:51], v[50:51], s[10:11], v[141:142]
	;; [unrolled: 1-line block ×17, first 2 shown]
	s_wait_alu 0xf1ff
	v_cndmask_b32_e64 v133, v131, v80, s0
	v_lshrrev_b32_e32 v131, 17, v66
	s_delay_alu instid0(VALU_DEP_2) | instskip(NEXT) | instid1(VALU_DEP_2)
	v_mul_i32_i24_e32 v67, 9, v133
	v_mul_lo_u16 v132, 0x64, v131
	s_delay_alu instid0(VALU_DEP_2) | instskip(NEXT) | instid1(VALU_DEP_2)
	v_lshlrev_b64_e32 v[66:67], 4, v[67:68]
	v_sub_nc_u16 v115, v115, v132
	v_mul_f64_e32 v[151:152], s[6:7], v[40:41]
	v_mul_f64_e32 v[153:154], s[6:7], v[26:27]
	v_fma_f64 v[60:61], v[161:162], s[14:15], v[60:61]
	v_fma_f64 v[46:47], v[161:162], s[14:15], v[46:47]
	;; [unrolled: 1-line block ×4, first 2 shown]
	v_mul_f64_e32 v[40:41], s[14:15], v[40:41]
	v_fma_f64 v[143:144], v[145:146], s[14:15], v[143:144]
	v_fma_f64 v[50:51], v[145:146], s[14:15], v[50:51]
	;; [unrolled: 1-line block ×7, first 2 shown]
	v_mul_f64_e32 v[112:113], s[12:13], v[165:166]
	v_fma_f64 v[108:109], v[135:136], s[14:15], v[120:121]
	v_mul_f64_e32 v[120:121], s[6:7], v[110:111]
	v_mul_f64_e32 v[122:123], s[6:7], v[30:31]
	v_fma_f64 v[73:74], v[98:99], s[12:13], v[118:119]
	v_mul_f64_e32 v[98:99], s[14:15], v[110:111]
	v_mul_f64_e32 v[30:31], s[18:19], v[30:31]
	;; [unrolled: 1-line block ×5, first 2 shown]
	v_fma_f64 v[77:78], v[88:89], s[10:11], v[147:148]
	v_mul_f64_e32 v[100:101], s[16:17], v[106:107]
	v_fma_f64 v[84:85], v[88:89], s[12:13], v[102:103]
	v_fma_f64 v[88:89], v[86:87], s[10:11], v[149:150]
	;; [unrolled: 1-line block ×3, first 2 shown]
	v_mul_f64_e32 v[26:27], s[18:19], v[26:27]
	v_mul_f64_e32 v[159:160], s[12:13], v[52:53]
	;; [unrolled: 1-line block ×3, first 2 shown]
	v_and_b32_e32 v132, 0xffff, v115
	v_fma_f64 v[118:119], v[46:47], s[18:19], v[153:154]
	v_fma_f64 v[62:63], v[4:5], s[14:15], v[62:63]
	;; [unrolled: 1-line block ×6, first 2 shown]
	v_mul_f64_e32 v[96:97], s[16:17], v[165:166]
	v_fma_f64 v[102:103], v[94:95], s[16:17], v[112:113]
	v_fma_f64 v[112:113], v[20:21], s[14:15], v[139:140]
	;; [unrolled: 1-line block ×22, first 2 shown]
	v_add_co_u32 v88, s0, s4, v66
	s_wait_alu 0xf1ff
	v_add_co_ci_u32_e64 v89, s0, s5, v67, s0
	v_cmp_lt_u32_e64 s0, 0x63, v80
	v_fma_f64 v[69:70], v[94:95], s[10:11], v[96:97]
	v_add_f64_e32 v[94:95], v[48:49], v[10:11]
	v_add_f64_e64 v[96:97], v[48:49], -v[10:11]
	v_add_f64_e32 v[50:51], v[90:91], v[102:103]
	v_add_f64_e64 v[73:74], v[90:91], -v[102:103]
	v_add_f64_e32 v[90:91], v[22:23], v[8:9]
	v_add_f64_e32 v[52:53], v[62:63], v[104:105]
	v_add_f64_e32 v[54:55], v[4:5], v[106:107]
	v_add_f64_e64 v[62:63], v[62:63], -v[104:105]
	v_add_f64_e32 v[100:101], v[16:17], v[30:31]
	v_add_f64_e32 v[60:61], v[0:1], v[110:111]
	v_add_f64_e64 v[4:5], v[4:5], -v[106:107]
	v_add_f64_e64 v[0:1], v[0:1], -v[110:111]
	v_add_f64_e32 v[75:76], v[36:37], v[32:33]
	v_add_f64_e32 v[77:78], v[112:113], v[92:93]
	v_add_f64_e64 v[32:33], v[36:37], -v[32:33]
	v_add_f64_e64 v[36:37], v[112:113], -v[92:93]
	;; [unrolled: 1-line block ×3, first 2 shown]
	v_add_f64_e32 v[102:103], v[6:7], v[38:39]
	v_add_f64_e64 v[30:31], v[16:17], -v[30:31]
	v_add_f64_e64 v[38:39], v[6:7], -v[38:39]
	v_add_f64_e32 v[104:105], v[58:59], v[44:45]
	v_add_f64_e32 v[84:85], v[20:21], v[118:119]
	v_add_f64_e64 v[44:45], v[58:59], -v[44:45]
	v_add_f64_e32 v[58:59], v[64:65], v[40:41]
	v_add_f64_e32 v[106:107], v[28:29], v[26:27]
	;; [unrolled: 1-line block ×4, first 2 shown]
	v_add_f64_e64 v[40:41], v[64:65], -v[40:41]
	v_add_f64_e64 v[20:21], v[20:21], -v[118:119]
	;; [unrolled: 1-line block ×5, first 2 shown]
	v_add3_u32 v110, 0, v167, v116
	v_add3_u32 v111, 0, v168, v117
	ds_store_2addr_b64 v110, v[18:19], v[50:51] offset1:10
	ds_store_2addr_b64 v110, v[52:53], v[54:55] offset0:20 offset1:30
	ds_store_2addr_b64 v110, v[60:61], v[12:13] offset0:40 offset1:50
	;; [unrolled: 1-line block ×4, first 2 shown]
	ds_store_2addr_b64 v111, v[42:43], v[75:76] offset1:10
	ds_store_2addr_b64 v111, v[77:78], v[84:85] offset0:20 offset1:30
	ds_store_2addr_b64 v111, v[86:87], v[14:15] offset0:40 offset1:50
	;; [unrolled: 1-line block ×4, first 2 shown]
	v_add_f64_e32 v[98:99], v[34:35], v[69:70]
	v_add_f64_e64 v[34:35], v[34:35], -v[69:70]
	v_add_f64_e32 v[69:70], v[56:57], v[71:72]
	v_add_f64_e64 v[71:72], v[56:57], -v[71:72]
	global_wb scope:SCOPE_SE
	s_wait_dscnt 0x0
	s_barrier_signal -1
	s_barrier_wait -1
	global_inv scope:SCOPE_SE
	ds_load_2addr_b64 v[0:3], v79 offset1:200
	ds_load_2addr_b64 v[4:7], v114 offset0:16 offset1:216
	ds_load_2addr_b64 v[48:51], v124 offset0:32 offset1:232
	ds_load_2addr_b64 v[8:11], v81 offset0:48 offset1:248
	ds_load_2addr_b64 v[54:57], v125 offset1:200
	ds_load_2addr_b64 v[12:15], v126 offset0:16 offset1:216
	ds_load_2addr_b64 v[64:67], v128 offset0:32 offset1:232
	ds_load_2addr_b64 v[16:19], v129 offset0:48 offset1:248
	ds_load_2addr_b64 v[73:76], v127 offset1:200
	ds_load_2addr_b64 v[20:23], v130 offset0:16 offset1:216
	global_wb scope:SCOPE_SE
	s_wait_dscnt 0x0
	s_barrier_signal -1
	s_barrier_wait -1
	global_inv scope:SCOPE_SE
	ds_store_2addr_b64 v110, v[90:91], v[98:99] offset1:10
	ds_store_2addr_b64 v110, v[69:70], v[100:101] offset0:20 offset1:30
	ds_store_2addr_b64 v110, v[102:103], v[92:93] offset0:40 offset1:50
	;; [unrolled: 1-line block ×4, first 2 shown]
	ds_store_2addr_b64 v111, v[94:95], v[104:105] offset1:10
	ds_store_2addr_b64 v111, v[58:59], v[106:107] offset0:20 offset1:30
	ds_store_2addr_b64 v111, v[108:109], v[96:97] offset0:40 offset1:50
	;; [unrolled: 1-line block ×4, first 2 shown]
	global_wb scope:SCOPE_SE
	s_wait_dscnt 0x0
	s_barrier_signal -1
	s_barrier_wait -1
	global_inv scope:SCOPE_SE
	global_load_b128 v[58:61], v[88:89], off offset:1456
	v_mul_u32_u24_e32 v24, 9, v132
	v_lshlrev_b32_e32 v167, 3, v132
	s_delay_alu instid0(VALU_DEP_2)
	v_lshlrev_b32_e32 v24, 4, v24
	s_clause 0x10
	global_load_b128 v[69:72], v24, s[4:5] offset:1456
	global_load_b128 v[84:87], v[88:89], off offset:1488
	global_load_b128 v[100:103], v24, s[4:5] offset:1488
	global_load_b128 v[104:107], v[88:89], off offset:1520
	;; [unrolled: 2-line block ×4, first 2 shown]
	global_load_b128 v[138:141], v[88:89], off offset:1504
	global_load_b128 v[142:145], v[88:89], off offset:1536
	;; [unrolled: 1-line block ×3, first 2 shown]
	global_load_b128 v[32:35], v24, s[4:5] offset:1472
	global_load_b128 v[40:43], v24, s[4:5] offset:1504
	;; [unrolled: 1-line block ×4, first 2 shown]
	global_load_b128 v[28:31], v[88:89], off offset:1440
	global_load_b128 v[24:27], v24, s[4:5] offset:1440
	ds_load_2addr_b64 v[92:95], v124 offset0:32 offset1:232
	ds_load_2addr_b64 v[150:153], v128 offset0:32 offset1:232
	ds_load_2addr_b64 v[154:157], v127 offset1:200
	s_wait_loadcnt_dscnt 0x1002
	v_mul_f64_e32 v[90:91], v[94:95], v[71:72]
	v_mul_f64_e32 v[71:72], v[50:51], v[71:72]
	s_wait_loadcnt 0xe
	v_mul_f64_e32 v[112:113], v[56:57], v[102:103]
	s_wait_loadcnt_dscnt 0xd01
	v_mul_f64_e32 v[158:159], v[150:151], v[106:107]
	v_mul_f64_e32 v[77:78], v[48:49], v[60:61]
	;; [unrolled: 1-line block ×3, first 2 shown]
	ds_load_2addr_b64 v[60:63], v125 offset1:200
	s_wait_loadcnt_dscnt 0xa01
	v_mul_f64_e32 v[160:161], v[156:157], v[121:122]
	v_mul_f64_e32 v[121:122], v[75:76], v[121:122]
	s_wait_dscnt 0x0
	v_mul_f64_e32 v[96:97], v[60:61], v[86:87]
	v_mul_f64_e32 v[86:87], v[54:55], v[86:87]
	;; [unrolled: 1-line block ×3, first 2 shown]
	v_fma_f64 v[90:91], v[50:51], v[69:70], v[90:91]
	v_fma_f64 v[94:95], v[94:95], v[69:70], -v[71:72]
	v_mul_f64_e32 v[69:70], v[154:155], v[117:118]
	v_mul_f64_e32 v[117:118], v[73:74], v[117:118]
	v_fma_f64 v[92:93], v[92:93], v[58:59], -v[77:78]
	v_mul_f64_e32 v[77:78], v[64:65], v[106:107]
	v_mul_f64_e32 v[106:107], v[152:153], v[110:111]
	;; [unrolled: 1-line block ×3, first 2 shown]
	v_fma_f64 v[88:89], v[48:49], v[58:59], v[52:53]
	ds_load_2addr_b64 v[48:51], v81 offset0:48 offset1:248
	v_fma_f64 v[75:76], v[75:76], v[119:120], v[160:161]
	v_fma_f64 v[96:97], v[54:55], v[84:85], v[96:97]
	v_fma_f64 v[102:103], v[60:61], v[84:85], -v[86:87]
	ds_load_2addr_b64 v[52:55], v126 offset0:16 offset1:216
	v_fma_f64 v[98:99], v[56:57], v[100:101], v[98:99]
	v_fma_f64 v[100:101], v[62:63], v[100:101], -v[112:113]
	ds_load_2addr_b64 v[56:59], v129 offset0:48 offset1:248
	ds_load_2addr_b64 v[60:63], v130 offset0:16 offset1:216
	v_fma_f64 v[84:85], v[64:65], v[104:105], v[158:159]
	s_wait_loadcnt_dscnt 0x903
	v_mul_f64_e32 v[162:163], v[48:49], v[136:137]
	v_mul_f64_e32 v[136:137], v[8:9], v[136:137]
	v_fma_f64 v[73:74], v[73:74], v[115:116], v[69:70]
	v_fma_f64 v[69:70], v[154:155], v[115:116], -v[117:118]
	s_wait_loadcnt 0x1
	v_mul_f64_e32 v[116:117], v[4:5], v[30:31]
	v_fma_f64 v[77:78], v[150:151], v[104:105], -v[77:78]
	v_fma_f64 v[86:87], v[66:67], v[108:109], v[106:107]
	ds_load_2addr_b64 v[64:67], v114 offset0:16 offset1:216
	v_fma_f64 v[71:72], v[152:153], v[108:109], -v[110:111]
	v_mul_f64_e32 v[104:105], v[50:51], v[34:35]
	s_wait_dscnt 0x3
	v_mul_f64_e32 v[150:151], v[52:53], v[140:141]
	v_mul_f64_e32 v[140:141], v[12:13], v[140:141]
	s_wait_dscnt 0x2
	v_mul_f64_e32 v[158:159], v[56:57], v[144:145]
	s_wait_dscnt 0x1
	v_mul_f64_e32 v[152:153], v[60:61], v[148:149]
	v_mul_f64_e32 v[144:145], v[16:17], v[144:145]
	;; [unrolled: 1-line block ×6, first 2 shown]
	v_fma_f64 v[34:35], v[156:157], v[119:120], -v[121:122]
	v_mul_f64_e32 v[112:113], v[58:59], v[38:39]
	v_mul_f64_e32 v[120:121], v[62:63], v[46:47]
	;; [unrolled: 1-line block ×4, first 2 shown]
	s_wait_dscnt 0x0
	v_mul_f64_e32 v[114:115], v[64:65], v[30:31]
	v_add_f64_e64 v[155:156], v[98:99], -v[90:91]
	v_fma_f64 v[42:43], v[8:9], v[134:135], v[162:163]
	v_fma_f64 v[46:47], v[48:49], v[134:135], -v[136:137]
	s_wait_loadcnt 0x0
	v_mul_f64_e32 v[48:49], v[66:67], v[26:27]
	v_fma_f64 v[10:11], v[10:11], v[32:33], v[104:105]
	v_fma_f64 v[38:39], v[12:13], v[138:139], v[150:151]
	v_fma_f64 v[30:31], v[52:53], v[138:139], -v[140:141]
	v_mul_f64_e32 v[52:53], v[6:7], v[26:27]
	v_fma_f64 v[26:27], v[16:17], v[142:143], v[158:159]
	v_fma_f64 v[12:13], v[20:21], v[146:147], v[152:153]
	v_fma_f64 v[16:17], v[56:57], v[142:143], -v[144:145]
	v_fma_f64 v[8:9], v[60:61], v[146:147], -v[148:149]
	;; [unrolled: 1-line block ×3, first 2 shown]
	v_fma_f64 v[14:15], v[14:15], v[40:41], v[108:109]
	v_fma_f64 v[40:41], v[54:55], v[40:41], -v[110:111]
	v_fma_f64 v[50:51], v[18:19], v[36:37], v[112:113]
	v_fma_f64 v[22:23], v[22:23], v[44:45], v[120:121]
	v_fma_f64 v[36:37], v[58:59], v[36:37], -v[118:119]
	v_fma_f64 v[44:45], v[62:63], v[44:45], -v[122:123]
	v_add_f64_e32 v[54:55], v[96:97], v[84:85]
	v_add_f64_e32 v[56:57], v[88:89], v[73:74]
	;; [unrolled: 1-line block ×4, first 2 shown]
	v_fma_f64 v[4:5], v[4:5], v[28:29], v[114:115]
	v_fma_f64 v[28:29], v[64:65], v[28:29], -v[116:117]
	v_add_f64_e32 v[62:63], v[102:103], v[77:78]
	v_add_f64_e32 v[64:65], v[92:93], v[69:70]
	;; [unrolled: 1-line block ×4, first 2 shown]
	s_wait_alu 0xf1ff
	v_cndmask_b32_e64 v20, 0, 0x1f40, s0
	v_lshlrev_b32_e32 v21, 3, v133
	v_fma_f64 v[6:7], v[6:7], v[24:25], v[48:49]
	v_add_f64_e64 v[48:49], v[88:89], -v[96:97]
	v_add_f64_e32 v[114:115], v[0:1], v[88:89]
	v_add_f64_e64 v[120:121], v[96:97], -v[88:89]
	v_add3_u32 v165, 0, v20, v21
	ds_load_2addr_b64 v[18:21], v79 offset1:200
	v_add_f64_e32 v[122:123], v[2:3], v[90:91]
	v_add_f64_e64 v[137:138], v[84:85], -v[73:74]
	v_add_f64_e64 v[143:144], v[90:91], -v[98:99]
	;; [unrolled: 1-line block ×7, first 2 shown]
	v_fma_f64 v[24:25], v[66:67], v[24:25], -v[52:53]
	v_add_f64_e64 v[52:53], v[73:74], -v[84:85]
	v_add_f64_e64 v[66:67], v[42:43], -v[38:39]
	;; [unrolled: 1-line block ×10, first 2 shown]
	s_wait_dscnt 0x0
	v_add_f64_e32 v[133:134], v[18:19], v[92:93]
	v_add_f64_e32 v[135:136], v[20:21], v[94:95]
	v_add_f64_e64 v[153:154], v[44:45], -v[36:37]
	v_add_f64_e64 v[159:160], v[14:15], -v[10:11]
	;; [unrolled: 1-line block ×3, first 2 shown]
	v_fma_f64 v[54:55], v[54:55], -0.5, v[0:1]
	v_fma_f64 v[0:1], v[56:57], -0.5, v[0:1]
	;; [unrolled: 1-line block ×4, first 2 shown]
	v_add_f64_e32 v[58:59], v[42:43], v[12:13]
	v_add_f64_e32 v[60:61], v[46:47], v[8:9]
	v_fma_f64 v[62:63], v[62:63], -0.5, v[18:19]
	v_fma_f64 v[18:19], v[64:65], -0.5, v[18:19]
	;; [unrolled: 1-line block ×4, first 2 shown]
	v_add_f64_e64 v[104:105], v[40:41], -v[32:33]
	v_add_f64_e64 v[106:107], v[36:37], -v[44:45]
	v_add_f64_e32 v[114:115], v[114:115], v[96:97]
	v_add_f64_e64 v[96:97], v[96:97], -v[84:85]
	v_add_f64_e32 v[122:123], v[122:123], v[98:99]
	v_add_f64_e32 v[120:121], v[120:121], v[137:138]
	v_add_f64_e64 v[137:138], v[77:78], -v[69:70]
	v_add_f64_e32 v[143:144], v[143:144], v[145:146]
	v_add_f64_e32 v[145:146], v[30:31], v[16:17]
	;; [unrolled: 1-line block ×3, first 2 shown]
	v_add_f64_e64 v[157:158], v[38:39], -v[26:27]
	v_add_f64_e64 v[90:91], v[90:91], -v[75:76]
	;; [unrolled: 1-line block ×3, first 2 shown]
	v_add_f64_e32 v[48:49], v[48:49], v[52:53]
	v_add_f64_e64 v[52:53], v[92:93], -v[102:103]
	v_add_f64_e32 v[66:67], v[66:67], v[108:109]
	v_add_f64_e64 v[108:109], v[69:70], -v[77:78]
	;; [unrolled: 2-line block ×4, first 2 shown]
	v_add_f64_e32 v[139:140], v[139:140], v[141:142]
	v_add_f64_e32 v[141:142], v[38:39], v[26:27]
	;; [unrolled: 1-line block ×3, first 2 shown]
	v_add_f64_e64 v[149:150], v[30:31], -v[16:17]
	v_add_f64_e32 v[151:152], v[151:152], v[153:154]
	v_add_f64_e64 v[153:154], v[34:35], -v[71:72]
	v_add_f64_e32 v[159:160], v[159:160], v[161:162]
	v_add_f64_e64 v[161:162], v[100:101], -v[94:95]
	v_add_f64_e64 v[92:93], v[92:93], -v[69:70]
	v_add_f64_e32 v[133:134], v[133:134], v[102:103]
	v_add_f64_e64 v[102:103], v[102:103], -v[77:78]
	v_fma_f64 v[58:59], v[58:59], -0.5, v[4:5]
	v_fma_f64 v[60:61], v[60:61], -0.5, v[28:29]
	v_add_f64_e32 v[135:136], v[135:136], v[100:101]
	v_add_f64_e64 v[100:101], v[100:101], -v[71:72]
	v_add_f64_e64 v[94:95], v[94:95], -v[34:35]
	v_add_nc_u32_e32 v166, 0x400, v165
	global_wb scope:SCOPE_SE
	v_add_f64_e32 v[104:105], v[104:105], v[106:107]
	v_add_f64_e64 v[106:107], v[71:72], -v[34:35]
	v_add_f64_e32 v[84:85], v[114:115], v[84:85]
	s_barrier_signal -1
	s_barrier_wait -1
	global_inv scope:SCOPE_SE
	v_fma_f64 v[114:115], v[98:99], s[6:7], v[20:21]
	v_fma_f64 v[20:21], v[98:99], s[2:3], v[20:21]
	v_add_f64_e32 v[52:53], v[52:53], v[108:109]
	v_add_f64_e32 v[108:109], v[4:5], v[42:43]
	v_add_f64_e64 v[42:43], v[42:43], -v[12:13]
	v_add_f64_e32 v[112:113], v[112:113], v[137:138]
	v_fma_f64 v[4:5], v[141:142], -0.5, v[4:5]
	v_add_f64_e32 v[141:142], v[28:29], v[46:47]
	v_add_f64_e64 v[46:47], v[46:47], -v[8:9]
	v_fma_f64 v[28:29], v[145:146], -0.5, v[28:29]
	v_add_f64_e32 v[118:119], v[118:119], v[153:154]
	v_add_f64_e32 v[153:154], v[14:15], v[50:51]
	v_fma_f64 v[163:164], v[92:93], s[6:7], v[54:55]
	v_fma_f64 v[54:55], v[92:93], s[2:3], v[54:55]
	;; [unrolled: 1-line block ×6, first 2 shown]
	v_add_f64_e32 v[71:72], v[135:136], v[71:72]
	v_add_f64_e32 v[106:107], v[161:162], v[106:107]
	;; [unrolled: 1-line block ×3, first 2 shown]
	v_fma_f64 v[20:21], v[90:91], s[12:13], v[20:21]
	v_add_f64_e32 v[38:39], v[108:109], v[38:39]
	v_add_f64_e32 v[108:109], v[40:41], v[36:37]
	;; [unrolled: 1-line block ×3, first 2 shown]
	v_fma_f64 v[141:142], v[46:47], s[6:7], v[4:5]
	v_fma_f64 v[4:5], v[46:47], s[2:3], v[4:5]
	v_fma_f64 v[153:154], v[153:154], -0.5, v[6:7]
	v_fma_f64 v[54:55], v[102:103], s[10:11], v[54:55]
	v_fma_f64 v[145:146], v[46:47], s[12:13], v[145:146]
	;; [unrolled: 1-line block ×7, first 2 shown]
	v_add_f64_e32 v[60:61], v[32:33], v[44:45]
	v_fma_f64 v[161:162], v[161:162], -0.5, v[6:7]
	v_add_f64_e32 v[6:7], v[6:7], v[10:11]
	v_add_f64_e64 v[10:11], v[10:11], -v[22:23]
	v_fma_f64 v[20:21], v[106:107], s[14:15], v[20:21]
	v_add_f64_e32 v[26:27], v[38:39], v[26:27]
	v_fma_f64 v[108:109], v[108:109], -0.5, v[24:25]
	v_add_f64_e32 v[38:39], v[122:123], v[86:87]
	v_fma_f64 v[86:87], v[90:91], s[2:3], v[64:65]
	v_fma_f64 v[122:123], v[102:103], s[12:13], v[163:164]
	;; [unrolled: 1-line block ×3, first 2 shown]
	v_add_f64_e32 v[16:17], v[30:31], v[16:17]
	v_fma_f64 v[141:142], v[149:150], s[12:13], v[141:142]
	v_fma_f64 v[4:5], v[149:150], s[10:11], v[4:5]
	v_add_f64_e32 v[30:31], v[133:134], v[77:78]
	v_fma_f64 v[77:78], v[88:89], s[2:3], v[62:63]
	v_fma_f64 v[62:63], v[88:89], s[6:7], v[62:63]
	;; [unrolled: 1-line block ×6, first 2 shown]
	v_fma_f64 v[60:61], v[60:61], -0.5, v[24:25]
	v_add_f64_e32 v[24:25], v[24:25], v[32:33]
	v_add_f64_e64 v[32:33], v[32:33], -v[44:45]
	v_add_f64_e32 v[6:7], v[6:7], v[14:15]
	v_add_f64_e64 v[14:15], v[14:15], -v[50:51]
	v_add_f64_e32 v[12:13], v[26:27], v[12:13]
	v_fma_f64 v[149:150], v[10:11], s[2:3], v[108:109]
	v_fma_f64 v[108:109], v[10:11], s[6:7], v[108:109]
	v_add_f64_e32 v[26:27], v[38:39], v[75:76]
	v_fma_f64 v[75:76], v[48:49], s[14:15], v[122:123]
	v_fma_f64 v[48:49], v[48:49], s[14:15], v[54:55]
	;; [unrolled: 1-line block ×3, first 2 shown]
	v_add_f64_e32 v[8:9], v[16:17], v[8:9]
	v_fma_f64 v[4:5], v[66:67], s[14:15], v[4:5]
	v_add_f64_e32 v[16:17], v[30:31], v[69:70]
	v_fma_f64 v[38:39], v[96:97], s[10:11], v[77:78]
	;; [unrolled: 2-line block ×3, first 2 shown]
	v_fma_f64 v[28:29], v[110:111], s[14:15], v[28:29]
	v_fma_f64 v[110:111], v[94:95], s[6:7], v[56:57]
	;; [unrolled: 1-line block ×3, first 2 shown]
	v_add_f64_e32 v[24:25], v[24:25], v[40:41]
	v_add_f64_e64 v[40:41], v[40:41], -v[36:37]
	v_add_f64_e32 v[6:7], v[6:7], v[50:51]
	v_fma_f64 v[157:158], v[14:15], s[6:7], v[60:61]
	v_fma_f64 v[60:61], v[14:15], s[2:3], v[60:61]
	;; [unrolled: 1-line block ×8, first 2 shown]
	v_mul_f64_e32 v[133:134], s[12:13], v[28:29]
	v_mul_f64_e32 v[28:29], s[20:21], v[28:29]
	v_fma_f64 v[56:57], v[100:101], s[10:11], v[56:57]
	v_add_f64_e32 v[24:25], v[24:25], v[36:37]
	v_add_f64_e32 v[36:37], v[84:85], v[73:74]
	v_mul_f64_e32 v[84:85], s[14:15], v[137:138]
	v_add_f64_e32 v[6:7], v[6:7], v[22:23]
	v_fma_f64 v[157:158], v[10:11], s[10:11], v[157:158]
	v_fma_f64 v[10:11], v[10:11], s[12:13], v[60:61]
	v_fma_f64 v[60:61], v[40:41], s[2:3], v[161:162]
	v_fma_f64 v[161:162], v[40:41], s[6:7], v[161:162]
	v_fma_f64 v[22:23], v[88:89], s[10:11], v[50:51]
	v_fma_f64 v[50:51], v[96:97], s[12:13], v[62:63]
	v_fma_f64 v[18:19], v[88:89], s[12:13], v[18:19]
	v_fma_f64 v[62:63], v[98:99], s[10:11], v[86:87]
	v_fma_f64 v[73:74], v[90:91], s[10:11], v[114:115]
	v_fma_f64 v[14:15], v[151:152], s[14:15], v[14:15]
	v_fma_f64 v[108:109], v[40:41], s[12:13], v[108:109]
	v_fma_f64 v[153:154], v[40:41], s[10:11], v[153:154]
	v_fma_f64 v[41:42], v[139:140], s[14:15], v[42:43]
	v_fma_f64 v[139:140], v[100:101], s[2:3], v[2:3]
	v_fma_f64 v[2:3], v[100:101], s[6:7], v[2:3]
	v_mul_u32_u24_e32 v43, 0x1f40, v131
	v_lshl_add_u32 v40, v80, 3, 0
	v_fma_f64 v[96:97], v[4:5], s[20:21], v[133:134]
	v_fma_f64 v[4:5], v[4:5], s[10:11], v[28:29]
	;; [unrolled: 1-line block ×3, first 2 shown]
	v_add_f64_e32 v[24:25], v[24:25], v[44:45]
	v_add_f64_e32 v[34:35], v[36:37], v[12:13]
	v_add_f64_e64 v[12:13], v[36:37], -v[12:13]
	v_add_f64_e32 v[36:37], v[26:27], v[6:7]
	v_fma_f64 v[157:158], v[104:105], s[14:15], v[157:158]
	v_fma_f64 v[10:11], v[104:105], s[14:15], v[10:11]
	;; [unrolled: 1-line block ×8, first 2 shown]
	v_add_f64_e64 v[6:7], v[26:27], -v[6:7]
	v_fma_f64 v[26:27], v[52:53], s[14:15], v[38:39]
	v_fma_f64 v[38:39], v[52:53], s[14:15], v[50:51]
	;; [unrolled: 1-line block ×5, first 2 shown]
	v_mul_f64_e32 v[149:150], s[12:13], v[14:15]
	v_fma_f64 v[108:109], v[147:148], s[14:15], v[108:109]
	v_mul_f64_e32 v[14:15], s[20:21], v[14:15]
	v_mul_f64_e32 v[116:117], s[6:7], v[41:42]
	;; [unrolled: 1-line block ×3, first 2 shown]
	v_fma_f64 v[2:3], v[94:95], s[10:11], v[2:3]
	v_fma_f64 v[50:51], v[118:119], s[14:15], v[64:65]
	v_add_nc_u32_e32 v151, 0x800, v165
	v_add_nc_u32_e32 v152, 0x1000, v165
	v_add_f64_e32 v[64:65], v[48:49], v[96:97]
	v_mul_f64_e32 v[145:146], s[6:7], v[157:158]
	v_mul_f64_e32 v[86:87], s[14:15], v[157:158]
	v_fma_f64 v[60:61], v[159:160], s[14:15], v[60:61]
	v_fma_f64 v[32:33], v[159:160], s[14:15], v[32:33]
	;; [unrolled: 1-line block ×7, first 2 shown]
	v_mul_f64_e32 v[66:67], s[12:13], v[58:59]
	v_mul_f64_e32 v[110:111], s[6:7], v[137:138]
	;; [unrolled: 1-line block ×3, first 2 shown]
	v_fma_f64 v[139:140], v[147:148], s[14:15], v[153:154]
	v_mul_f64_e32 v[147:148], s[6:7], v[10:11]
	v_mul_f64_e32 v[58:59], s[16:17], v[58:59]
	;; [unrolled: 1-line block ×4, first 2 shown]
	v_fma_f64 v[90:91], v[46:47], s[18:19], v[116:117]
	v_fma_f64 v[41:42], v[46:47], s[2:3], v[41:42]
	;; [unrolled: 1-line block ×3, first 2 shown]
	v_add3_u32 v117, 0, v43, v167
	v_fma_f64 v[43:44], v[118:119], s[14:15], v[62:63]
	v_add_f64_e64 v[47:48], v[48:49], -v[96:97]
	v_add_nc_u32_e32 v116, 0x1800, v165
	s_delay_alu instid0(VALU_DEP_4)
	v_add_nc_u32_e32 v118, 0x1000, v117
	v_add_nc_u32_e32 v119, 0x1800, v117
	v_fma_f64 v[104:105], v[60:61], s[14:15], v[145:146]
	v_fma_f64 v[77:78], v[120:121], s[14:15], v[131:132]
	;; [unrolled: 1-line block ×16, first 2 shown]
	v_add_f64_e32 v[100:101], v[18:19], v[41:42]
	v_add_f64_e32 v[102:103], v[38:39], v[4:5]
	v_add_f64_e64 v[41:42], v[18:19], -v[41:42]
	v_add_f64_e32 v[62:63], v[0:1], v[90:91]
	v_add_f64_e64 v[0:1], v[0:1], -v[90:91]
	;; [unrolled: 2-line block ×3, first 2 shown]
	v_add_f64_e32 v[32:33], v[75:76], v[66:67]
	v_add_f64_e32 v[60:61], v[77:78], v[88:89]
	v_add_f64_e64 v[66:67], v[75:76], -v[66:67]
	v_add_f64_e64 v[69:70], v[77:78], -v[88:89]
	v_add_f64_e32 v[71:72], v[94:95], v[98:99]
	v_add_f64_e32 v[75:76], v[2:3], v[110:111]
	;; [unrolled: 1-line block ×3, first 2 shown]
	v_add_f64_e64 v[84:85], v[94:95], -v[98:99]
	v_add_f64_e64 v[2:3], v[2:3], -v[110:111]
	;; [unrolled: 1-line block ×3, first 2 shown]
	v_add_f64_e32 v[88:89], v[16:17], v[8:9]
	v_add_f64_e32 v[96:97], v[26:27], v[52:53]
	;; [unrolled: 1-line block ×3, first 2 shown]
	v_add_f64_e64 v[90:91], v[16:17], -v[8:9]
	v_add_f64_e64 v[52:53], v[26:27], -v[52:53]
	;; [unrolled: 1-line block ×4, first 2 shown]
	v_add_f64_e32 v[92:93], v[30:31], v[24:25]
	v_add_f64_e32 v[106:107], v[43:44], v[45:46]
	v_add_f64_e64 v[43:44], v[43:44], -v[45:46]
	v_add_f64_e32 v[45:46], v[28:29], v[54:55]
	v_add_f64_e32 v[108:109], v[20:21], v[10:11]
	v_add_f64_e64 v[94:95], v[30:31], -v[24:25]
	v_add_f64_e32 v[112:113], v[50:51], v[14:15]
	v_add_f64_e64 v[54:55], v[28:29], -v[54:55]
	v_add_nc_u32_e32 v114, 0x400, v117
	v_add_nc_u32_e32 v115, 0x800, v117
	v_add_f64_e64 v[110:111], v[20:21], -v[10:11]
	v_add_f64_e64 v[49:50], v[50:51], -v[14:15]
	ds_store_2addr_b64 v165, v[34:35], v[32:33] offset1:100
	ds_store_2addr_b64 v166, v[60:61], v[62:63] offset0:72 offset1:172
	ds_store_2addr_b64 v151, v[64:65], v[12:13] offset0:144 offset1:244
	;; [unrolled: 1-line block ×4, first 2 shown]
	ds_store_2addr_b64 v117, v[36:37], v[71:72] offset1:100
	ds_store_2addr_b64 v114, v[73:74], v[75:76] offset0:72 offset1:172
	ds_store_2addr_b64 v115, v[77:78], v[6:7] offset0:144 offset1:244
	;; [unrolled: 1-line block ×4, first 2 shown]
	global_wb scope:SCOPE_SE
	s_wait_dscnt 0x0
	s_barrier_signal -1
	s_barrier_wait -1
	global_inv scope:SCOPE_SE
	ds_load_b64 v[38:39], v79 offset:3200
	ds_load_b64 v[36:37], v40 offset:4800
	ds_load_2addr_b64 v[0:3], v79 offset1:200
	ds_load_2addr_b64 v[4:7], v124 offset0:32 offset1:232
	ds_load_2addr_b64 v[8:11], v126 offset0:16 offset1:216
	;; [unrolled: 1-line block ×4, first 2 shown]
	ds_load_2addr_b64 v[16:19], v127 offset1:200
	ds_load_2addr_b64 v[12:15], v128 offset0:32 offset1:232
	ds_load_2addr_b64 v[32:35], v125 offset1:200
	ds_load_2addr_b64 v[28:31], v130 offset0:16 offset1:216
	global_wb scope:SCOPE_SE
	s_wait_dscnt 0x0
	s_barrier_signal -1
	s_barrier_wait -1
	global_inv scope:SCOPE_SE
	ds_store_2addr_b64 v165, v[88:89], v[96:97] offset1:100
	ds_store_2addr_b64 v166, v[98:99], v[100:101] offset0:72 offset1:172
	ds_store_2addr_b64 v151, v[102:103], v[90:91] offset0:144 offset1:244
	;; [unrolled: 1-line block ×4, first 2 shown]
	ds_store_2addr_b64 v117, v[92:93], v[106:107] offset1:100
	ds_store_2addr_b64 v114, v[45:46], v[108:109] offset0:72 offset1:172
	ds_store_2addr_b64 v115, v[112:113], v[94:95] offset0:144 offset1:244
	;; [unrolled: 1-line block ×4, first 2 shown]
	global_wb scope:SCOPE_SE
	s_wait_dscnt 0x0
	s_barrier_signal -1
	s_barrier_wait -1
	global_inv scope:SCOPE_SE
	s_and_saveexec_b32 s0, vcc_lo
	s_cbranch_execz .LBB0_13
; %bb.12:
	v_add_nc_u32_e32 v41, 0x320, v80
	v_mul_u32_u24_e32 v42, 3, v80
	s_delay_alu instid0(VALU_DEP_2) | instskip(NEXT) | instid1(VALU_DEP_2)
	v_mul_u32_u24_e32 v43, 3, v41
	v_lshlrev_b32_e32 v54, 4, v42
	v_mad_u32_u24 v67, v41, 3, 0xfffffda8
	s_delay_alu instid0(VALU_DEP_3)
	v_lshlrev_b32_e32 v62, 4, v43
	s_clause 0x3
	global_load_b128 v[42:45], v54, s[4:5] offset:15872
	global_load_b128 v[46:49], v62, s[4:5] offset:15856
	;; [unrolled: 1-line block ×4, first 2 shown]
	v_lshlrev_b64_e32 v[58:59], 4, v[67:68]
	v_mad_u32_u24 v67, v41, 3, 0xfffffb50
	s_delay_alu instid0(VALU_DEP_1) | instskip(NEXT) | instid1(VALU_DEP_3)
	v_lshlrev_b64_e32 v[73:74], 4, v[67:68]
	v_add_co_u32 v77, vcc_lo, s4, v58
	v_mad_u32_u24 v67, v41, 3, 0xfffff8f8
	s_wait_alu 0xfffd
	v_add_co_ci_u32_e32 v78, vcc_lo, s5, v59, vcc_lo
	s_delay_alu instid0(VALU_DEP_4)
	v_add_co_u32 v96, vcc_lo, s4, v73
	s_wait_alu 0xfffd
	v_add_co_ci_u32_e32 v97, vcc_lo, s5, v74, vcc_lo
	v_lshlrev_b64_e32 v[66:67], 4, v[67:68]
	s_clause 0x7
	global_load_b128 v[58:61], v62, s[4:5] offset:15872
	global_load_b128 v[62:65], v62, s[4:5] offset:15840
	global_load_b128 v[69:72], v[77:78], off offset:15856
	global_load_b128 v[73:76], v[77:78], off offset:15840
	;; [unrolled: 1-line block ×6, first 2 shown]
	v_mul_hi_u32 v41, 0x10624dd3, v41
	v_add_co_u32 v66, vcc_lo, s4, v66
	s_wait_alu 0xfffd
	v_add_co_ci_u32_e32 v67, vcc_lo, s5, v67, vcc_lo
	s_clause 0x2
	global_load_b128 v[100:103], v[66:67], off offset:15856
	global_load_b128 v[104:107], v[66:67], off offset:15840
	;; [unrolled: 1-line block ×3, first 2 shown]
	ds_load_2addr_b64 v[112:115], v129 offset0:48 offset1:248
	ds_load_2addr_b64 v[116:119], v126 offset0:16 offset1:216
	;; [unrolled: 1-line block ×4, first 2 shown]
	ds_load_2addr_b64 v[135:138], v125 offset1:200
	ds_load_2addr_b64 v[139:142], v130 offset0:16 offset1:216
	s_wait_loadcnt 0xe
	v_mul_f64_e32 v[66:67], v[26:27], v[42:43]
	v_mul_f64_e32 v[26:27], v[26:27], v[44:45]
	s_wait_loadcnt 0xd
	v_mul_f64_e32 v[77:78], v[24:25], v[48:49]
	s_wait_dscnt 0x5
	v_mul_f64_e32 v[48:49], v[112:113], v[48:49]
	s_wait_loadcnt 0xc
	v_mul_f64_e32 v[143:144], v[8:9], v[52:53]
	s_wait_dscnt 0x4
	v_mul_f64_e32 v[52:53], v[116:117], v[52:53]
	s_wait_loadcnt 0xb
	v_mul_f64_e32 v[145:146], v[6:7], v[54:55]
	v_mul_f64_e32 v[147:148], v[6:7], v[56:57]
	s_wait_loadcnt 0xa
	v_mul_f64_e32 v[128:129], v[30:31], v[58:59]
	s_wait_loadcnt 0x9
	v_mul_f64_e32 v[124:125], v[34:35], v[62:63]
	v_mul_f64_e32 v[34:35], v[34:35], v[64:65]
	s_wait_loadcnt 0x7
	v_mul_f64_e32 v[151:152], v[32:33], v[73:74]
	v_mul_f64_e32 v[149:150], v[14:15], v[71:72]
	;; [unrolled: 1-line block ×3, first 2 shown]
	s_wait_loadcnt 0x6
	v_mul_f64_e32 v[153:154], v[28:29], v[86:87]
	s_wait_dscnt 0x3
	v_mul_f64_e32 v[71:72], v[122:123], v[71:72]
	v_mul_f64_e32 v[28:29], v[28:29], v[84:85]
	;; [unrolled: 1-line block ×3, first 2 shown]
	s_wait_loadcnt 0x1
	v_mul_f64_e32 v[155:156], v[20:21], v[104:105]
	v_mul_f64_e32 v[157:158], v[20:21], v[106:107]
	s_wait_loadcnt 0x0
	v_mul_f64_e32 v[159:160], v[16:17], v[108:109]
	v_mul_f64_e32 v[161:162], v[16:17], v[110:111]
	v_fma_f64 v[44:45], v[114:115], v[44:45], v[66:67]
	v_fma_f64 v[26:27], v[114:115], v[42:43], -v[26:27]
	v_mul_f64_e32 v[42:43], v[12:13], v[94:95]
	v_mul_f64_e32 v[66:67], v[22:23], v[96:97]
	v_fma_f64 v[77:78], v[112:113], v[46:47], -v[77:78]
	v_mul_f64_e32 v[112:113], v[22:23], v[98:99]
	v_mul_f64_e32 v[114:115], v[18:19], v[90:91]
	v_fma_f64 v[24:25], v[24:25], v[46:47], v[48:49]
	v_mul_f64_e32 v[46:47], v[120:121], v[94:95]
	v_mul_f64_e32 v[48:49], v[18:19], v[88:89]
	;; [unrolled: 1-line block ×4, first 2 shown]
	v_fma_f64 v[116:117], v[116:117], v[50:51], -v[143:144]
	v_fma_f64 v[50:51], v[8:9], v[50:51], v[52:53]
	ds_load_2addr_b64 v[6:9], v81 offset0:48 offset1:248
	ds_load_2addr_b64 v[16:19], v127 offset1:200
	s_wait_dscnt 0x4
	v_fma_f64 v[52:53], v[133:134], v[56:57], v[145:146]
	v_fma_f64 v[54:55], v[133:134], v[54:55], -v[147:148]
	ds_load_2addr_b64 v[20:23], v79 offset1:200
	s_wait_dscnt 0x3
	v_fma_f64 v[60:61], v[141:142], v[60:61], v[128:129]
	v_fma_f64 v[56:57], v[137:138], v[64:65], v[124:125]
	v_fma_f64 v[34:35], v[137:138], v[62:63], -v[34:35]
	v_fma_f64 v[64:65], v[135:136], v[75:76], v[151:152]
	v_fma_f64 v[62:63], v[122:123], v[69:70], -v[149:150]
	v_fma_f64 v[32:33], v[135:136], v[73:74], -v[32:33]
	v_fma_f64 v[73:74], v[139:140], v[84:85], -v[153:154]
	v_fma_f64 v[14:15], v[14:15], v[69:70], v[71:72]
	v_fma_f64 v[28:29], v[139:140], v[86:87], v[28:29]
	v_fma_f64 v[30:31], v[141:142], v[58:59], -v[30:31]
	ds_load_b64 v[69:70], v40 offset:4800
	ds_load_b64 v[71:72], v79 offset:3200
	v_mov_b32_e32 v81, v68
	s_wait_dscnt 0x3
	v_fma_f64 v[58:59], v[16:17], v[108:109], -v[161:162]
	v_fma_f64 v[16:17], v[16:17], v[110:111], v[159:160]
	s_delay_alu instid0(VALU_DEP_3)
	v_lshlrev_b64_e32 v[108:109], 4, v[80:81]
	v_fma_f64 v[42:43], v[120:121], v[92:93], -v[42:43]
	v_fma_f64 v[66:67], v[8:9], v[98:99], v[66:67]
	v_add_f64_e64 v[77:78], v[131:132], -v[77:78]
	v_fma_f64 v[8:9], v[8:9], v[96:97], -v[112:113]
	v_fma_f64 v[75:76], v[18:19], v[88:89], -v[114:115]
	v_lshrrev_b32_e32 v114, 6, v41
	v_fma_f64 v[12:13], v[12:13], v[92:93], v[46:47]
	v_fma_f64 v[18:19], v[18:19], v[90:91], v[48:49]
	v_fma_f64 v[46:47], v[118:119], v[100:101], -v[94:95]
	v_fma_f64 v[48:49], v[6:7], v[106:107], v[155:156]
	v_fma_f64 v[6:7], v[6:7], v[104:105], -v[157:158]
	v_fma_f64 v[10:11], v[10:11], v[100:101], v[102:103]
	s_wait_dscnt 0x2
	v_add_f64_e64 v[84:85], v[20:21], -v[116:117]
	v_add_f64_e64 v[90:91], v[4:5], -v[24:25]
	;; [unrolled: 1-line block ×6, first 2 shown]
	s_wait_dscnt 0x1
	v_add_f64_e64 v[62:63], v[69:70], -v[62:63]
	v_add_f64_e64 v[73:74], v[32:33], -v[73:74]
	;; [unrolled: 1-line block ×4, first 2 shown]
	s_wait_dscnt 0x0
	v_add_f64_e64 v[86:87], v[71:72], -v[42:43]
	v_fma_f64 v[98:99], v[131:132], 2.0, -v[77:78]
	v_add_f64_e64 v[42:43], v[8:9], -v[75:76]
	v_add_f64_e64 v[75:76], v[38:39], -v[12:13]
	;; [unrolled: 1-line block ×8, first 2 shown]
	v_fma_f64 v[94:95], v[20:21], 2.0, -v[84:85]
	v_fma_f64 v[96:97], v[0:1], 2.0, -v[50:51]
	;; [unrolled: 1-line block ×4, first 2 shown]
	v_add_nc_u32_e32 v0, 0x190, v80
	v_fma_f64 v[69:70], v[69:70], 2.0, -v[62:63]
	s_delay_alu instid0(VALU_DEP_2)
	v_mul_hi_u32 v40, 0x10624dd3, v0
	v_fma_f64 v[32:33], v[32:33], 2.0, -v[73:74]
	v_fma_f64 v[102:103], v[36:37], 2.0, -v[88:89]
	;; [unrolled: 1-line block ×4, first 2 shown]
	v_add_f64_e32 v[0:1], v[50:51], v[26:27]
	v_add_f64_e64 v[10:11], v[62:63], -v[14:15]
	v_lshrrev_b32_e32 v40, 6, v40
	v_fma_f64 v[71:72], v[71:72], 2.0, -v[86:87]
	v_fma_f64 v[8:9], v[8:9], 2.0, -v[42:43]
	;; [unrolled: 1-line block ×10, first 2 shown]
	v_add_f64_e64 v[2:3], v[84:85], -v[44:45]
	v_add_f64_e32 v[4:5], v[90:91], v[18:19]
	v_add_f64_e64 v[18:19], v[60:61], -v[16:17]
	v_add_f64_e32 v[16:17], v[92:93], v[28:29]
	;; [unrolled: 2-line block ×3, first 2 shown]
	v_add_f64_e64 v[6:7], v[77:78], -v[24:25]
	v_add_f64_e64 v[30:31], v[94:95], -v[30:31]
	;; [unrolled: 1-line block ×4, first 2 shown]
	v_add_nc_u32_e32 v42, 0x258, v80
	v_add_f64_e64 v[24:25], v[102:103], -v[36:37]
	v_mul_u32_u24_e32 v67, 0xbb8, v40
	v_fma_f64 v[40:41], v[50:51], 2.0, -v[0:1]
	v_fma_f64 v[50:51], v[62:63], 2.0, -v[10:11]
	v_mul_hi_u32 v42, 0x10624dd3, v42
	v_add_co_u32 v66, vcc_lo, s8, v82
	s_wait_alu 0xfffd
	v_add_co_ci_u32_e32 v112, vcc_lo, s9, v83, vcc_lo
	v_lshlrev_b64_e32 v[110:111], 4, v[67:68]
	s_delay_alu instid0(VALU_DEP_4) | instskip(SKIP_2) | instid1(VALU_DEP_3)
	v_lshrrev_b32_e32 v113, 6, v42
	v_add_f64_e64 v[22:23], v[71:72], -v[8:9]
	v_add_f64_e32 v[8:9], v[88:89], v[73:74]
	v_mul_u32_u24_e32 v67, 0xbb8, v113
	v_add_f64_e64 v[20:21], v[100:101], -v[20:21]
	v_add_f64_e64 v[34:35], v[98:99], -v[34:35]
	;; [unrolled: 1-line block ×5, first 2 shown]
	v_fma_f64 v[42:43], v[84:85], 2.0, -v[2:3]
	v_fma_f64 v[44:45], v[90:91], 2.0, -v[4:5]
	;; [unrolled: 1-line block ×9, first 2 shown]
	v_lshlrev_b64_e32 v[85:86], 4, v[67:68]
	v_mul_u32_u24_e32 v67, 0xbb8, v114
	v_fma_f64 v[62:63], v[71:72], 2.0, -v[22:23]
	v_fma_f64 v[71:72], v[69:70], 2.0, -v[26:27]
	;; [unrolled: 1-line block ×8, first 2 shown]
	v_add_co_u32 v64, vcc_lo, v66, v108
	v_fma_f64 v[81:82], v[106:107], 2.0, -v[36:37]
	s_wait_alu 0xfffd
	v_add_co_ci_u32_e32 v65, vcc_lo, v112, v109, vcc_lo
	s_delay_alu instid0(VALU_DEP_3) | instskip(SKIP_2) | instid1(VALU_DEP_3)
	v_add_co_u32 v87, vcc_lo, v64, v110
	v_lshlrev_b64_e32 v[66:67], 4, v[67:68]
	s_wait_alu 0xfffd
	v_add_co_ci_u32_e32 v88, vcc_lo, v65, v111, vcc_lo
	v_add_co_u32 v85, vcc_lo, v64, v85
	s_wait_alu 0xfffd
	v_add_co_ci_u32_e32 v86, vcc_lo, v65, v86, vcc_lo
	v_add_co_u32 v66, vcc_lo, v64, v66
	s_wait_alu 0xfffd
	v_add_co_ci_u32_e32 v67, vcc_lo, v65, v67, vcc_lo
	s_clause 0x13
	global_store_b128 v[64:65], v[0:3], off offset:48000
	global_store_b128 v[64:65], v[16:19], off offset:51200
	;; [unrolled: 1-line block ×16, first 2 shown]
	global_store_b128 v[64:65], v[73:76], off
	global_store_b128 v[64:65], v[81:84], off offset:3200
	global_store_b128 v[66:67], v[32:35], off offset:44800
	;; [unrolled: 1-line block ×3, first 2 shown]
.LBB0_13:
	s_nop 0
	s_sendmsg sendmsg(MSG_DEALLOC_VGPRS)
	s_endpgm
	.section	.rodata,"a",@progbits
	.p2align	6, 0x0
	.amdhsa_kernel fft_rtc_back_len4000_factors_10_10_10_4_wgs_200_tpt_200_halfLds_dp_ip_CI_unitstride_sbrr_dirReg
		.amdhsa_group_segment_fixed_size 0
		.amdhsa_private_segment_fixed_size 0
		.amdhsa_kernarg_size 88
		.amdhsa_user_sgpr_count 2
		.amdhsa_user_sgpr_dispatch_ptr 0
		.amdhsa_user_sgpr_queue_ptr 0
		.amdhsa_user_sgpr_kernarg_segment_ptr 1
		.amdhsa_user_sgpr_dispatch_id 0
		.amdhsa_user_sgpr_private_segment_size 0
		.amdhsa_wavefront_size32 1
		.amdhsa_uses_dynamic_stack 0
		.amdhsa_enable_private_segment 0
		.amdhsa_system_sgpr_workgroup_id_x 1
		.amdhsa_system_sgpr_workgroup_id_y 0
		.amdhsa_system_sgpr_workgroup_id_z 0
		.amdhsa_system_sgpr_workgroup_info 0
		.amdhsa_system_vgpr_workitem_id 0
		.amdhsa_next_free_vgpr 173
		.amdhsa_next_free_sgpr 32
		.amdhsa_reserve_vcc 1
		.amdhsa_float_round_mode_32 0
		.amdhsa_float_round_mode_16_64 0
		.amdhsa_float_denorm_mode_32 3
		.amdhsa_float_denorm_mode_16_64 3
		.amdhsa_fp16_overflow 0
		.amdhsa_workgroup_processor_mode 1
		.amdhsa_memory_ordered 1
		.amdhsa_forward_progress 0
		.amdhsa_round_robin_scheduling 0
		.amdhsa_exception_fp_ieee_invalid_op 0
		.amdhsa_exception_fp_denorm_src 0
		.amdhsa_exception_fp_ieee_div_zero 0
		.amdhsa_exception_fp_ieee_overflow 0
		.amdhsa_exception_fp_ieee_underflow 0
		.amdhsa_exception_fp_ieee_inexact 0
		.amdhsa_exception_int_div_zero 0
	.end_amdhsa_kernel
	.text
.Lfunc_end0:
	.size	fft_rtc_back_len4000_factors_10_10_10_4_wgs_200_tpt_200_halfLds_dp_ip_CI_unitstride_sbrr_dirReg, .Lfunc_end0-fft_rtc_back_len4000_factors_10_10_10_4_wgs_200_tpt_200_halfLds_dp_ip_CI_unitstride_sbrr_dirReg
                                        ; -- End function
	.section	.AMDGPU.csdata,"",@progbits
; Kernel info:
; codeLenInByte = 12824
; NumSgprs: 34
; NumVgprs: 173
; ScratchSize: 0
; MemoryBound: 1
; FloatMode: 240
; IeeeMode: 1
; LDSByteSize: 0 bytes/workgroup (compile time only)
; SGPRBlocks: 4
; VGPRBlocks: 21
; NumSGPRsForWavesPerEU: 34
; NumVGPRsForWavesPerEU: 173
; Occupancy: 8
; WaveLimiterHint : 1
; COMPUTE_PGM_RSRC2:SCRATCH_EN: 0
; COMPUTE_PGM_RSRC2:USER_SGPR: 2
; COMPUTE_PGM_RSRC2:TRAP_HANDLER: 0
; COMPUTE_PGM_RSRC2:TGID_X_EN: 1
; COMPUTE_PGM_RSRC2:TGID_Y_EN: 0
; COMPUTE_PGM_RSRC2:TGID_Z_EN: 0
; COMPUTE_PGM_RSRC2:TIDIG_COMP_CNT: 0
	.text
	.p2alignl 7, 3214868480
	.fill 96, 4, 3214868480
	.type	__hip_cuid_1b0127c367bf5c22,@object ; @__hip_cuid_1b0127c367bf5c22
	.section	.bss,"aw",@nobits
	.globl	__hip_cuid_1b0127c367bf5c22
__hip_cuid_1b0127c367bf5c22:
	.byte	0                               ; 0x0
	.size	__hip_cuid_1b0127c367bf5c22, 1

	.ident	"AMD clang version 19.0.0git (https://github.com/RadeonOpenCompute/llvm-project roc-6.4.0 25133 c7fe45cf4b819c5991fe208aaa96edf142730f1d)"
	.section	".note.GNU-stack","",@progbits
	.addrsig
	.addrsig_sym __hip_cuid_1b0127c367bf5c22
	.amdgpu_metadata
---
amdhsa.kernels:
  - .args:
      - .actual_access:  read_only
        .address_space:  global
        .offset:         0
        .size:           8
        .value_kind:     global_buffer
      - .offset:         8
        .size:           8
        .value_kind:     by_value
      - .actual_access:  read_only
        .address_space:  global
        .offset:         16
        .size:           8
        .value_kind:     global_buffer
      - .actual_access:  read_only
        .address_space:  global
        .offset:         24
        .size:           8
        .value_kind:     global_buffer
      - .offset:         32
        .size:           8
        .value_kind:     by_value
      - .actual_access:  read_only
        .address_space:  global
        .offset:         40
        .size:           8
        .value_kind:     global_buffer
      - .actual_access:  read_only
        .address_space:  global
        .offset:         48
        .size:           8
        .value_kind:     global_buffer
      - .offset:         56
        .size:           4
        .value_kind:     by_value
      - .actual_access:  read_only
        .address_space:  global
        .offset:         64
        .size:           8
        .value_kind:     global_buffer
      - .actual_access:  read_only
        .address_space:  global
        .offset:         72
        .size:           8
        .value_kind:     global_buffer
      - .address_space:  global
        .offset:         80
        .size:           8
        .value_kind:     global_buffer
    .group_segment_fixed_size: 0
    .kernarg_segment_align: 8
    .kernarg_segment_size: 88
    .language:       OpenCL C
    .language_version:
      - 2
      - 0
    .max_flat_workgroup_size: 200
    .name:           fft_rtc_back_len4000_factors_10_10_10_4_wgs_200_tpt_200_halfLds_dp_ip_CI_unitstride_sbrr_dirReg
    .private_segment_fixed_size: 0
    .sgpr_count:     34
    .sgpr_spill_count: 0
    .symbol:         fft_rtc_back_len4000_factors_10_10_10_4_wgs_200_tpt_200_halfLds_dp_ip_CI_unitstride_sbrr_dirReg.kd
    .uniform_work_group_size: 1
    .uses_dynamic_stack: false
    .vgpr_count:     173
    .vgpr_spill_count: 0
    .wavefront_size: 32
    .workgroup_processor_mode: 1
amdhsa.target:   amdgcn-amd-amdhsa--gfx1201
amdhsa.version:
  - 1
  - 2
...

	.end_amdgpu_metadata
